;; amdgpu-corpus repo=ROCm/aiter kind=harvested arch=n/a opt=n/a

/root/src/amdgpu-assembly/repos/ROCm__aiter/hsa/gfx950/fmoe_2stages/fmoe_stage1_bf16_pertokenInt8_g1u1_32x128_3tg_pf3.co:	file format elf64-amdgpu

Disassembly of section .text:

0000000000002a00 <_ZN5aiter49fmoe_stage1_bf16_pertokenInt8_g1u1_32x128_3tg_pf3E>:
	s_and_b32 s1, s1, 0xffff                                   // 000000002A00: 8601FF01 0000FFFF
	s_load_dwordx2 s[8:9], s[0:1], 0x0                         // 000000002A08: C0060200 00000000
	s_load_dwordx2 s[20:21], s[0:1], 0x10                      // 000000002A10: C0060500 00000010
	s_load_dwordx2 s[24:25], s[0:1], 0x20                      // 000000002A18: C0060600 00000020
	s_load_dwordx2 s[48:49], s[0:1], 0x30                      // 000000002A20: C0060C00 00000030
	s_load_dwordx2 s[28:29], s[0:1], 0x40                      // 000000002A28: C0060700 00000040
	s_load_dwordx2 s[32:33], s[0:1], 0x50                      // 000000002A30: C0060800 00000050
	s_load_dwordx2 s[36:37], s[0:1], 0x60                      // 000000002A38: C0060900 00000060
	s_load_dwordx2 s[12:13], s[0:1], 0x70                      // 000000002A40: C0060300 00000070
	s_load_dwordx2 s[44:45], s[0:1], 0x80                      // 000000002A48: C0060B00 00000080
	s_mov_b32 s89, 0                                           // 000000002A50: BED90080
	s_load_dword s64, s[0:1], 0x90                             // 000000002A54: C0021000 00000090
	s_load_dword s65, s[0:1], 0xa0                             // 000000002A5C: C0021040 000000A0
	s_load_dword s66, s[0:1], 0xb0                             // 000000002A64: C0021080 000000B0
	s_load_dword s67, s[0:1], 0xc0                             // 000000002A6C: C00210C0 000000C0
	s_load_dword s68, s[0:1], 0xd0                             // 000000002A74: C0021100 000000D0
	s_load_dword s69, s[0:1], 0xe0                             // 000000002A7C: C0021140 000000E0
	s_load_dword s71, s[0:1], 0xf0                             // 000000002A84: C00211C0 000000F0
	s_load_dword s72, s[0:1], 0x100                            // 000000002A8C: C0021200 00000100
	s_load_dword s74, s[0:1], 0x110                            // 000000002A94: C0021280 00000110
	s_load_dword s76, s[0:1], 0x120                            // 000000002A9C: C0021300 00000120
	s_load_dword s56, s[0:1], 0x130                            // 000000002AA4: C0020E00 00000130
	s_load_dword s88, s[0:1], 0x140                            // 000000002AAC: C0021600 00000140
	s_load_dword s89, s[0:1], 0x150                            // 000000002AB4: C0021640 00000150
	v_lshrrev_b32_e32 v1, 10, v0                               // 000000002ABC: 2002008A
	v_lshrrev_b32_e32 v2, 10, v1                               // 000000002AC0: 2004028A
	v_and_b32_e32 v2, 0x3ff, v2                                // 000000002AC4: 260404FF 000003FF
	v_and_b32_e32 v1, 0x3ff, v1                                // 000000002ACC: 260202FF 000003FF
	v_and_b32_e32 v0, 0x3ff, v0                                // 000000002AD4: 260000FF 000003FF
	v_lshrrev_b32_e32 v3, 6, v0                                // 000000002ADC: 20060086
	v_and_b32_e32 v0, 63, v0                                   // 000000002AE0: 260000BF
	s_mov_b32 s2, s2                                           // 000000002AE4: BE820002
	s_mov_b32 s3, s3                                           // 000000002AE8: BE830003
	s_mov_b32 s4, s4                                           // 000000002AEC: BE840004
	v_readfirstlane_b32 s7, v3                                 // 000000002AF0: 7E0E0503
	s_waitcnt lgkmcnt(0)                                       // 000000002AF4: BF8CC07F
	s_and_b32 s49, s49, 0xffff                                 // 000000002AF8: 8631FF31 0000FFFF
	s_load_dword s48, s[48:49], 0x0                            // 000000002B00: C0020C18 00000000
	s_and_b32 s45, s45, 0xffff                                 // 000000002B08: 862DFF2D 0000FFFF
	s_and_b32 s9, s9, 0xffff                                   // 000000002B10: 8609FF09 0000FFFF
	s_mul_i32 s60, s66, s68                                    // 000000002B18: 923C4442
	s_mul_i32 s61, s66, 4                                      // 000000002B1C: 923D8442
	s_mov_b32 s22, s60                                         // 000000002B20: BE96003C
	s_mov_b32 s26, -16                                         // 000000002B24: BE9A00D0
	s_mov_b32 s30, s61                                         // 000000002B28: BE9E003D
	s_mov_b32 s14, 0x80                                        // 000000002B2C: BE8E00FF 00000080
	s_mov_b32 s38, -16                                         // 000000002B34: BEA600D0
	s_mov_b32 s10, -16                                         // 000000002B38: BE8A00D0
	s_mov_b32 s34, 0x200                                       // 000000002B3C: BEA200FF 00000200
	s_mov_b32 s23, 0x20000                                     // 000000002B44: BE9700FF 00020000
	s_mov_b32 s27, 0x20000                                     // 000000002B4C: BE9B00FF 00020000
	s_mov_b32 s31, 0x20000                                     // 000000002B54: BE9F00FF 00020000
	s_mov_b32 s35, 0x20000                                     // 000000002B5C: BEA300FF 00020000
	s_mov_b32 s15, 0x20000                                     // 000000002B64: BE8F00FF 00020000
	s_mov_b32 s39, 0x20000                                     // 000000002B6C: BEA700FF 00020000
	s_mov_b32 s11, 0x20000                                     // 000000002B74: BE8B00FF 00020000
	s_and_b32 s21, s21, 0xffff                                 // 000000002B7C: 8615FF15 0000FFFF
	s_and_b32 s25, s25, 0xffff                                 // 000000002B84: 8619FF19 0000FFFF
	s_and_b32 s29, s29, 0xffff                                 // 000000002B8C: 861DFF1D 0000FFFF
	s_and_b32 s33, s33, 0xffff                                 // 000000002B94: 8621FF21 0000FFFF
	s_and_b32 s13, s13, 0xffff                                 // 000000002B9C: 860DFF0D 0000FFFF
	s_and_b32 s37, s37, 0xffff                                 // 000000002BA4: 8625FF25 0000FFFF
	s_or_b32 s21, s21, 0x40000                                 // 000000002BAC: 8715FF15 00040000
	s_or_b32 s25, s25, 0x40000                                 // 000000002BB4: 8719FF19 00040000
	s_or_b32 s29, s29, 0x40000                                 // 000000002BBC: 871DFF1D 00040000
	s_or_b32 s33, s33, 0x40000                                 // 000000002BC4: 8721FF21 00040000
	s_or_b32 s13, s13, 0x40000                                 // 000000002BCC: 870DFF0D 00040000
	s_or_b32 s37, s37, 0x40000                                 // 000000002BD4: 8725FF25 00040000
	v_accvgpr_write_b32 a79, 0                                 // 000000002BDC: D3D9404F 18000080
	v_mov_b32_e32 v75, 0                                       // 000000002BE4: 7E960280
	s_waitcnt lgkmcnt(0)                                       // 000000002BE8: BF8CC07F
	s_mul_i32 s60, s3, 32                                      // 000000002BEC: 923CA003
	s_cmp_lt_i32 s60, s48                                      // 000000002BF0: BF04303C
	s_cbranch_scc0 label_11FC                                  // 000000002BF4: BF84117B
	s_mov_b32 s80, 0                                           // 000000002BF8: BED00080
	s_lshr_b32 s81, s64, s88                                   // 000000002BFC: 8F515840
	s_mul_i32 s60, s3, 4                                       // 000000002C00: 923C8403
	s_add_u32 s44, s60, s44                                    // 000000002C04: 802C2C3C
	s_addc_u32 s45, 0, s45                                     // 000000002C08: 822D2D80
	s_load_dword s5, s[44:45], 0x0                             // 000000002C0C: C0020156 00000000
	s_mul_i32 s60, s3, 32                                      // 000000002C14: 923CA003
	s_mul_i32 s60, 4, s60                                      // 000000002C18: 923C3C84
	s_add_u32 s12, s60, s12                                    // 000000002C1C: 800C0C3C
	s_addc_u32 s13, 0, s13                                     // 000000002C20: 820D0D80
	v_and_b32_e32 v4, 15, v0                                   // 000000002C24: 2608008F
	v_lshlrev_b32_e32 v4, 2, v4                                // 000000002C28: 24080882
	buffer_load_dword v30, v4, s[12:15], 0 offen               // 000000002C2C: E0501000 80031E04
	v_add_u32_e32 v4, 64, v4                                   // 000000002C34: 680808C0
	buffer_load_dword v31, v4, s[12:15], 0 offen               // 000000002C38: E0501000 80031F04
	v_add_u32_e32 v4, 64, v4                                   // 000000002C40: 680808C0
	s_mul_i32 s60, 4, s7                                       // 000000002C44: 923C0784
	v_lshlrev_b32_e32 v4, 4, v0                                // 000000002C48: 24080084
	v_add_u32_e32 v4, s60, v4                                  // 000000002C4C: 6808083C
	buffer_load_dword v3, v4, s[12:15], 0 offen                // 000000002C50: E0501000 80030304
	v_mov_b32_e32 v44, 0                                       // 000000002C58: 7E580280
	v_mov_b32_e32 v60, 0                                       // 000000002C5C: 7E780280
	v_mov_b32_e32 v45, 0                                       // 000000002C60: 7E5A0280
	v_mov_b32_e32 v61, 0                                       // 000000002C64: 7E7A0280
	v_mov_b32_e32 v46, 0                                       // 000000002C68: 7E5C0280
	v_mov_b32_e32 v62, 0                                       // 000000002C6C: 7E7C0280
	v_mov_b32_e32 v47, 0                                       // 000000002C70: 7E5E0280
	v_mov_b32_e32 v63, 0                                       // 000000002C74: 7E7E0280
	v_mov_b32_e32 v48, 0                                       // 000000002C78: 7E600280
	v_mov_b32_e32 v64, 0                                       // 000000002C7C: 7E800280
	v_mov_b32_e32 v49, 0                                       // 000000002C80: 7E620280
	v_mov_b32_e32 v65, 0                                       // 000000002C84: 7E820280
	v_mov_b32_e32 v50, 0                                       // 000000002C88: 7E640280
	v_mov_b32_e32 v66, 0                                       // 000000002C8C: 7E840280
	v_mov_b32_e32 v51, 0                                       // 000000002C90: 7E660280
	v_mov_b32_e32 v67, 0                                       // 000000002C94: 7E860280
	v_mov_b32_e32 v52, 0                                       // 000000002C98: 7E680280
	v_mov_b32_e32 v68, 0                                       // 000000002C9C: 7E880280
	v_mov_b32_e32 v53, 0                                       // 000000002CA0: 7E6A0280
	v_mov_b32_e32 v69, 0                                       // 000000002CA4: 7E8A0280
	v_mov_b32_e32 v54, 0                                       // 000000002CA8: 7E6C0280
	v_mov_b32_e32 v70, 0                                       // 000000002CAC: 7E8C0280
	v_mov_b32_e32 v55, 0                                       // 000000002CB0: 7E6E0280
	v_mov_b32_e32 v71, 0                                       // 000000002CB4: 7E8E0280
	v_mov_b32_e32 v56, 0                                       // 000000002CB8: 7E700280
	v_mov_b32_e32 v72, 0                                       // 000000002CBC: 7E900280
	v_mov_b32_e32 v57, 0                                       // 000000002CC0: 7E720280
	v_mov_b32_e32 v73, 0                                       // 000000002CC4: 7E920280
	v_mov_b32_e32 v58, 0                                       // 000000002CC8: 7E740280
	v_mov_b32_e32 v74, 0                                       // 000000002CCC: 7E940280
	v_mov_b32_e32 v59, 0                                       // 000000002CD0: 7E760280
	v_mov_b32_e32 v75, 0                                       // 000000002CD4: 7E960280
	s_mul_i32 s60, s2, 0x100                                   // 000000002CD8: 923CFF02 00000100
	s_cmp_eq_u32 s88, 0                                        // 000000002CE0: BF068058
	s_cselect_b32 s61, 1, 2                                    // 000000002CE4: 853D8281
	s_mul_i32 s60, s60, s61                                    // 000000002CE8: 923C3D3C
	s_mov_b32 s90, s8                                          // 000000002CEC: BEDA0008
	s_mov_b32 s91, s9                                          // 000000002CF0: BEDB0009
	s_add_u32 s8, s60, s8                                      // 000000002CF4: 8008083C
	s_addc_u32 s9, 0, s9                                       // 000000002CF8: 82090980
	v_lshrrev_b32_e32 v4, 4, v0                                // 000000002CFC: 20080084
	v_mul_lo_u32 v20, 34, v4                                   // 000000002D00: D2850014 000208A2
	v_and_b32_e32 v4, 15, v0                                   // 000000002D08: 2608008F
	v_mul_lo_u32 v5, 2, v4                                     // 000000002D0C: D2850005 00020882
	v_add_u32_e32 v20, v5, v20                                 // 000000002D14: 68282905
	s_mul_i32 s60, s7, 0x88                                    // 000000002D18: 923CFF07 00000088
	v_add_u32_e32 v20, s60, v20                                // 000000002D20: 6828283C
	v_lshlrev_b32_e32 v20, 2, v20                              // 000000002D24: 24282882
	v_and_b32_e32 v4, 31, v0                                   // 000000002D28: 2608009F
	v_lshrrev_b32_e32 v4, 1, v4                                // 000000002D2C: 20080881
	v_mul_lo_u32 v21, 34, v4                                   // 000000002D30: D2850015 000208A2
	v_lshrrev_b32_e32 v4, 5, v0                                // 000000002D38: 20080085
	v_mul_lo_u32 v4, 8, v4                                     // 000000002D3C: D2850004 00020888
	v_add_u32_e32 v21, v21, v4                                 // 000000002D44: 682A0915
	v_and_b32_e32 v5, 1, v0                                    // 000000002D48: 260A0081
	v_add_u32_e32 v21, v5, v21                                 // 000000002D4C: 682A2B05
	s_mul_i32 s60, s7, 2                                       // 000000002D50: 923C8207
	v_add_u32_e32 v21, s60, v21                                // 000000002D54: 682A2A3C
	v_lshlrev_b32_e32 v21, 2, v21                              // 000000002D58: 242A2A82
	s_mul_i32 s60, s7, 0x420                                   // 000000002D5C: 923CFF07 00000420
	s_add_u32 s48, 0, s60                                      // 000000002D64: 80303C80
	s_add_u32 s49, 0x1080, s48                                 // 000000002D68: 803130FF 00001080
	s_add_u32 s50, 0x1080, s49                                 // 000000002D70: 803231FF 00001080
	v_lshrrev_b32_e32 v4, 4, v0                                // 000000002D78: 20080084
	v_lshlrev_b32_e32 v5, 2, v4                                // 000000002D7C: 240A0882
	v_and_b32_e32 v4, 15, v0                                   // 000000002D80: 2608008F
	v_lshrrev_b32_e32 v6, 2, v4                                // 000000002D84: 200C0882
	v_lshlrev_b32_e32 v6, 5, v6                                // 000000002D88: 240C0C85
	v_add_u32_e32 v5, v6, v5                                   // 000000002D8C: 680A0B06
	v_and_b32_e32 v4, 3, v0                                    // 000000002D90: 26080083
	v_mul_u32_u24_e32 v6, 0x108, v4                            // 000000002D94: 100C08FF 00000108
	v_add_u32_e32 v5, v6, v5                                   // 000000002D9C: 680A0B06
	v_lshlrev_b32_e32 v2, 2, v5                                // 000000002DA0: 24040A82
	s_waitcnt lgkmcnt(0)                                       // 000000002DA4: BF8CC07F
	s_mul_i32 s60, s2, 0x80                                    // 000000002DA8: 923CFF02 00000080
	s_mul_i32 s60, s60, s69                                    // 000000002DB0: 923C453C
	s_mul_i32 s61, s5, s72                                     // 000000002DB4: 923D4805
	s_add_u32 s60, s61, s60                                    // 000000002DB8: 803C3C3D
	s_add_u32 s24, s60, s24                                    // 000000002DBC: 8018183C
	s_addc_u32 s25, 0, s25                                     // 000000002DC0: 82191980
	s_lshr_b32 s60, s64, s88                                   // 000000002DC4: 8F3C5840
	s_mul_i32 s60, s4, s60                                     // 000000002DC8: 923C3C04
	s_lshr_b32 s60, s60, 7                                     // 000000002DCC: 8F3C873C
	s_mul_i32 s60, s60, 0x800                                  // 000000002DD0: 923CFF3C 00000800
	s_add_u32 s24, s60, s24                                    // 000000002DD8: 8018183C
	s_addc_u32 s25, 0, s25                                     // 000000002DDC: 82191980
	s_lshr_b32 s60, s69, s88                                   // 000000002DE0: 8F3C5845
	s_mul_i32 s60, s4, s60                                     // 000000002DE4: 923C3C04
	s_add_u32 s20, s60, s20                                    // 000000002DE8: 8014143C
	s_addc_u32 s21, 0, s21                                     // 000000002DEC: 82151580
	s_mul_i32 s60, s7, 16                                      // 000000002DF0: 923C9007
	s_mul_i32 s60, s60, s69                                    // 000000002DF4: 923C453C
	v_lshlrev_b32_e32 v42, 4, v0                               // 000000002DF8: 24540084
	v_add_u32_e32 v42, s60, v42                                // 000000002DFC: 6854543C
	s_mul_i32 s60, 64, s69                                     // 000000002E00: 923C45C0
	v_add_u32_e32 v43, s60, v42                                // 000000002E04: 6856543C
	s_mov_b32 s84, s24                                         // 000000002E08: BED40018
	s_mov_b32 s85, s25                                         // 000000002E0C: BED50019
	s_mov_b32 s86, s26                                         // 000000002E10: BED6001A
	s_mov_b32 s87, s27                                         // 000000002E14: BED7001B
	s_mul_i32 s60, s69, s65                                    // 000000002E18: 923C4145
	s_add_u32 s84, s60, s84                                    // 000000002E1C: 8054543C
	s_addc_u32 s85, 0, s85                                     // 000000002E20: 82555580
	v_lshrrev_b32_e32 v4, 4, v0                                // 000000002E24: 20080084
	v_lshlrev_b32_e32 v5, 2, v4                                // 000000002E28: 240A0882
	v_and_b32_e32 v4, 15, v0                                   // 000000002E2C: 2608008F
	v_lshrrev_b32_e32 v6, 2, v4                                // 000000002E30: 200C0882
	v_lshlrev_b32_e32 v6, 6, v6                                // 000000002E34: 240C0C86
	v_add_u32_e32 v5, v6, v5                                   // 000000002E38: 680A0B06
	v_and_b32_e32 v4, 3, v0                                    // 000000002E3C: 26080083
	v_add_u32_e32 v5, v4, v5                                   // 000000002E40: 680A0B04
	v_lshlrev_b32_e32 v22, 2, v5                               // 000000002E44: 242C0A82
	s_mul_i32 s60, s7, 16                                      // 000000002E48: 923C9007
	s_mul_i32 s60, s60, 4                                      // 000000002E4C: 923C843C
	v_add_u32_e32 v22, s60, v22                                // 000000002E50: 682C2C3C
	s_mul_i32 s60, s2, 0x80                                    // 000000002E54: 923CFF02 00000080
	s_mul_i32 s60, s60, 4                                      // 000000002E5C: 923C843C
	s_mul_i32 s61, s5, s74                                     // 000000002E60: 923D4A05
	s_add_u32 s61, s61, s60                                    // 000000002E64: 803D3C3D
	s_add_u32 s32, s61, s32                                    // 000000002E68: 8020203D
	s_addc_u32 s33, 0, s33                                     // 000000002E6C: 82212180
	s_mov_b32 s57, 0x80                                        // 000000002E70: BEB900FF 00000080
	s_mov_b32 s58, 0x800                                       // 000000002E78: BEBA00FF 00000800
	s_mov_b32 s83, s58                                         // 000000002E80: BED3003A
	s_mov_b32 s52, 0x7060302                                   // 000000002E84: BEB400FF 07060302
	s_mov_b32 s53, 0x400                                       // 000000002E8C: BEB500FF 00000400
	s_mov_b32 s54, 0x40100                                     // 000000002E94: BEB600FF 00040100
	s_mov_b32 s55, 0x4020100                                   // 000000002E9C: BEB700FF 04020100
	s_mov_b32 s6, 0x3fb8aa3b                                   // 000000002EA4: BE8600FF 3FB8AA3B
	s_mov_b32 s78, 0xbd92220c                                  // 000000002EAC: BECE00FF BD92220C
	s_mov_b32 s79, 0xbd92220c                                  // 000000002EB4: BECF00FF BD92220C
	s_mov_b32 m0, s48                                          // 000000002EBC: BEFC0030
	v_mov_b32_e32 v1, 0xbfcc4231                               // 000000002EC0: 7E0202FF BFCC4231
	v_mov_b32_e32 v17, 0xffff0000                              // 000000002EC8: 7E2202FF FFFF0000
	v_mov_b32_e32 v18, 0x7fff0000                              // 000000002ED0: 7E2402FF 7FFF0000
	v_mov_b32_e32 v19, 0x7fff                                  // 000000002ED8: 7E2602FF 00007FFF
	s_waitcnt vmcnt(0) expcnt(0) lgkmcnt(0)                    // 000000002EE0: BF8C0000
	v_lshrrev_b32_e32 v4, 5, v0                                // 000000002EE4: 20080085
	v_xor_b32_e32 v5, 1, v4                                    // 000000002EE8: 2A0A0881
	v_readlane_b32 s82, v3, 0                                  // 000000002EEC: D2890052 00010103
	s_and_b32 s82, s82, 0xffffff                               // 000000002EF4: 8652FF52 00FFFFFF
	v_mul_lo_u32 v6, v5, s82                                   // 000000002EFC: D2850006 0000A505
	v_readlane_b32 s82, v3, 1                                  // 000000002F04: D2890052 00010303
	s_and_b32 s82, s82, 0xffffff                               // 000000002F0C: 8652FF52 00FFFFFF
	v_mul_lo_u32 v7, v4, s82                                   // 000000002F14: D2850007 0000A504
	v_add_u32_e32 v38, v6, v7                                  // 000000002F1C: 684C0F06
	v_mul_lo_u32 v38, v38, s68                                 // 000000002F20: D2850026 00008926
	v_readlane_b32 s82, v3, 2                                  // 000000002F28: D2890052 00010503
	s_and_b32 s82, s82, 0xffffff                               // 000000002F30: 8652FF52 00FFFFFF
	v_mul_lo_u32 v6, v5, s82                                   // 000000002F38: D2850006 0000A505
	v_readlane_b32 s82, v3, 3                                  // 000000002F40: D2890052 00010703
	s_and_b32 s82, s82, 0xffffff                               // 000000002F48: 8652FF52 00FFFFFF
	v_mul_lo_u32 v7, v4, s82                                   // 000000002F50: D2850007 0000A504
	v_add_u32_e32 v39, v6, v7                                  // 000000002F58: 684E0F06
	v_mul_lo_u32 v39, v39, s68                                 // 000000002F5C: D2850027 00008927
	v_readlane_b32 s82, v3, 4                                  // 000000002F64: D2890052 00010903
	s_and_b32 s82, s82, 0xffffff                               // 000000002F6C: 8652FF52 00FFFFFF
	v_mul_lo_u32 v6, v5, s82                                   // 000000002F74: D2850006 0000A505
	v_readlane_b32 s82, v3, 5                                  // 000000002F7C: D2890052 00010B03
	s_and_b32 s82, s82, 0xffffff                               // 000000002F84: 8652FF52 00FFFFFF
	v_mul_lo_u32 v7, v4, s82                                   // 000000002F8C: D2850007 0000A504
	v_add_u32_e32 v40, v6, v7                                  // 000000002F94: 68500F06
	v_mul_lo_u32 v40, v40, s68                                 // 000000002F98: D2850028 00008928
	v_readlane_b32 s82, v3, 6                                  // 000000002FA0: D2890052 00010D03
	s_and_b32 s82, s82, 0xffffff                               // 000000002FA8: 8652FF52 00FFFFFF
	v_mul_lo_u32 v6, v5, s82                                   // 000000002FB0: D2850006 0000A505
	v_readlane_b32 s82, v3, 7                                  // 000000002FB8: D2890052 00010F03
	s_and_b32 s82, s82, 0xffffff                               // 000000002FC0: 8652FF52 00FFFFFF
	v_mul_lo_u32 v7, v4, s82                                   // 000000002FC8: D2850007 0000A504
	v_add_u32_e32 v41, v6, v7                                  // 000000002FD0: 68520F06
	v_mul_lo_u32 v41, v41, s68                                 // 000000002FD4: D2850029 00008929
	v_and_b32_e32 v4, 31, v0                                   // 000000002FDC: 2608009F
	v_lshlrev_b32_e32 v4, 2, v4                                // 000000002FE0: 24080882
	v_add_u32_e32 v38, v38, v4                                 // 000000002FE4: 684C0926
	v_add_u32_e32 v39, v39, v4                                 // 000000002FE8: 684E0927
	v_add_u32_e32 v40, v40, v4                                 // 000000002FEC: 68500928
	v_add_u32_e32 v41, v41, v4                                 // 000000002FF0: 68520929
	v_and_b32_e32 v30, 0xffffff, v30                           // 000000002FF4: 263C3CFF 00FFFFFF
	v_lshlrev_b32_e32 v30, 2, v30                              // 000000002FFC: 243C3C82
	v_and_b32_e32 v31, 0xffffff, v31                           // 000000003000: 263E3EFF 00FFFFFF
	v_lshlrev_b32_e32 v31, 2, v31                              // 000000003008: 243E3E82
	s_lshl_b32 s3, s66, 2                                      // 00000000300C: 8E038242
	buffer_load_dword v32, v30, s[28:31], 0 offen              // 000000003010: E0501000 8007201E
	buffer_load_dword v33, v31, s[28:31], 0 offen              // 000000003018: E0501000 8007211F
	buffer_load_dword v24, v22, s[32:35], 0 offen              // 000000003020: E0501000 80081816
	s_mul_i32 s60, 4, s65                                      // 000000003028: 923C4184
	s_add_u32 s32, s60, s32                                    // 00000000302C: 8020203C
	s_addc_u32 s33, 0, s33                                     // 000000003030: 82212180
	buffer_load_dword v27, v22, s[32:35], 0 offen              // 000000003034: E0501000 80081B16
	buffer_load_dword v38, s[20:23], 0 offen lds               // 00000000303C: E0511000 80050026
	s_add_u32 m0, 0x100, s48                                   // 000000003044: 807C30FF 00000100
	buffer_load_dword v39, s[20:23], 0 offen lds               // 00000000304C: E0511000 80050027
	s_add_u32 m0, 0x200, s48                                   // 000000003054: 807C30FF 00000200
	buffer_load_dword v40, s[20:23], 0 offen lds               // 00000000305C: E0511000 80050028
	s_add_u32 m0, 0x300, s48                                   // 000000003064: 807C30FF 00000300
	buffer_load_dword v41, s[20:23], 0 offen lds               // 00000000306C: E0511000 80050029
	s_add_u32 m0, 0, s49                                       // 000000003074: 807C3180
	s_add_u32 s20, s57, s20                                    // 000000003078: 80141439
	s_addc_u32 s21, 0, s21                                     // 00000000307C: 82151580
	buffer_load_dwordx4 a[32:35], v42, s[24:27], 0 offen       // 000000003080: E05C1000 8086202A
	buffer_load_dwordx4 a[36:39], v42, s[24:27], 0 offen offset:1024// 000000003088: E05C1400 8086242A
	buffer_load_dwordx4 a[40:43], v43, s[24:27], 0 offen       // 000000003090: E05C1000 8086282B
	buffer_load_dwordx4 a[44:47], v43, s[24:27], 0 offen offset:1024// 000000003098: E05C1400 80862C2B
	s_add_u32 s24, s58, s24                                    // 0000000030A0: 8018183A
	s_addc_u32 s25, 0, s25                                     // 0000000030A4: 82191980
	buffer_load_dword v38, s[20:23], 0 offen lds               // 0000000030A8: E0511000 80050026
	s_add_u32 m0, 0x100, s49                                   // 0000000030B0: 807C31FF 00000100
	buffer_load_dword v39, s[20:23], 0 offen lds               // 0000000030B8: E0511000 80050027
	s_add_u32 m0, 0x200, s49                                   // 0000000030C0: 807C31FF 00000200
	buffer_load_dword v40, s[20:23], 0 offen lds               // 0000000030C8: E0511000 80050028
	s_add_u32 m0, 0x300, s49                                   // 0000000030D0: 807C31FF 00000300
	buffer_load_dword v41, s[20:23], 0 offen lds               // 0000000030D8: E0511000 80050029
	s_add_u32 m0, 0, s50                                       // 0000000030E0: 807C3280
	s_add_u32 s20, s57, s20                                    // 0000000030E4: 80141439
	s_addc_u32 s21, 0, s21                                     // 0000000030E8: 82151580
	buffer_load_dwordx4 a[48:51], v42, s[84:87], 0 offen       // 0000000030EC: E05C1000 8095302A
	buffer_load_dwordx4 a[52:55], v42, s[84:87], 0 offen offset:1024// 0000000030F4: E05C1400 8095342A
	buffer_load_dwordx4 a[56:59], v43, s[84:87], 0 offen       // 0000000030FC: E05C1000 8095382B
	buffer_load_dwordx4 a[60:63], v43, s[84:87], 0 offen offset:1024// 000000003104: E05C1400 80953C2B
	s_add_u32 s84, s83, s84                                    // 00000000310C: 80545453
	s_addc_u32 s85, 0, s85                                     // 000000003110: 82555580
	s_waitcnt vmcnt(12)                                        // 000000003114: BF8C0F7C
	s_barrier                                                  // 000000003118: BF8A0000
	ds_read_b128 a[0:3], v2                                    // 00000000311C: DBFE0000 00000002
	ds_read_b128 a[4:7], v2 offset:64                          // 000000003124: DBFE0040 04000002
	ds_read_b128 a[8:11], v2 offset:512                        // 00000000312C: DBFE0200 08000002
	ds_read_b128 a[12:15], v2 offset:576                       // 000000003134: DBFE0240 0C000002
	s_cmp_lt_i32 s7, 2                                         // 00000000313C: BF048207
	s_cbranch_scc0 label_09E8                                  // 000000003140: BF840814

0000000000003144 <label_01D1>:
	s_waitcnt vmcnt(8) lgkmcnt(0)                              // 000000003144: BF8C0078
	v_mfma_i32_16x16x32_i8 v[44:47], a[32:33], a[0:1], v[44:47]// 000000003148: D3D7002C 1CB20120
	v_mfma_i32_16x16x32_i8 v[44:47], a[34:35], a[2:3], v[44:47]// 000000003150: D3D7002C 1CB20522
	buffer_load_dwordx4 a[64:67], v42, s[24:27], 0 offen       // 000000003158: E05C1000 8086402A
	v_mfma_i32_16x16x32_i8 v[44:47], a[36:37], a[4:5], v[44:47]// 000000003160: D3D7002C 1CB20924
	v_mfma_i32_16x16x32_i8 v[44:47], a[38:39], a[6:7], v[44:47]// 000000003168: D3D7002C 1CB20D26
	v_mfma_i32_16x16x32_i8 v[52:55], a[40:41], a[0:1], v[52:55]// 000000003170: D3D70034 1CD20128
	v_mfma_i32_16x16x32_i8 v[52:55], a[42:43], a[2:3], v[52:55]// 000000003178: D3D70034 1CD2052A
	buffer_load_dwordx4 a[68:71], v42, s[24:27], 0 offen offset:1024// 000000003180: E05C1400 8086442A
	v_mfma_i32_16x16x32_i8 v[52:55], a[44:45], a[4:5], v[52:55]// 000000003188: D3D70034 1CD2092C
	v_mfma_i32_16x16x32_i8 v[52:55], a[46:47], a[6:7], v[52:55]// 000000003190: D3D70034 1CD20D2E
	v_mfma_i32_16x16x32_i8 v[48:51], a[32:33], a[8:9], v[48:51]// 000000003198: D3D70030 1CC21120
	v_mfma_i32_16x16x32_i8 v[48:51], a[34:35], a[10:11], v[48:51]// 0000000031A0: D3D70030 1CC21522
	buffer_load_dwordx4 a[72:75], v43, s[24:27], 0 offen       // 0000000031A8: E05C1000 8086482B
	v_mfma_i32_16x16x32_i8 v[48:51], a[36:37], a[12:13], v[48:51]// 0000000031B0: D3D70030 1CC21924
	v_mfma_i32_16x16x32_i8 v[48:51], a[38:39], a[14:15], v[48:51]// 0000000031B8: D3D70030 1CC21D26
	v_mfma_i32_16x16x32_i8 v[56:59], a[40:41], a[8:9], v[56:59]// 0000000031C0: D3D70038 1CE21128
	v_mfma_i32_16x16x32_i8 v[56:59], a[42:43], a[10:11], v[56:59]// 0000000031C8: D3D70038 1CE2152A
	buffer_load_dwordx4 a[76:79], v43, s[24:27], 0 offen offset:1024// 0000000031D0: E05C1400 80864C2B
	buffer_load_dword v38, s[20:23], 0 offen lds               // 0000000031D8: E0511000 80050026
	s_add_u32 m0, 0x100, s50                                   // 0000000031E0: 807C32FF 00000100
	v_mfma_i32_16x16x32_i8 v[56:59], a[44:45], a[12:13], v[56:59]// 0000000031E8: D3D70038 1CE2192C
	v_mfma_i32_16x16x32_i8 v[56:59], a[46:47], a[14:15], v[56:59]// 0000000031F0: D3D70038 1CE21D2E
	buffer_load_dword v39, s[20:23], 0 offen lds               // 0000000031F8: E0511000 80050027
	s_add_u32 m0, 0x200, s50                                   // 000000003200: 807C32FF 00000200
	buffer_load_dword v40, s[20:23], 0 offen lds               // 000000003208: E0511000 80050028
	s_add_u32 m0, 0x300, s50                                   // 000000003210: 807C32FF 00000300
	buffer_load_dword v41, s[20:23], 0 offen lds               // 000000003218: E0511000 80050029
	s_add_u32 m0, 0, s48                                       // 000000003220: 807C3080
	s_waitcnt vmcnt(8)                                         // 000000003224: BF8C0F78
	s_barrier                                                  // 000000003228: BF8A0000
	v_mfma_i32_16x16x32_i8 v[60:63], a[48:49], a[0:1], v[60:63]// 00000000322C: D3D7003C 1CF20130
	v_mfma_i32_16x16x32_i8 v[60:63], a[50:51], a[2:3], v[60:63]// 000000003234: D3D7003C 1CF20532
	buffer_load_dwordx4 a[32:35], v42, s[84:87], 0 offen       // 00000000323C: E05C1000 8095202A
	v_mfma_i32_16x16x32_i8 v[60:63], a[52:53], a[4:5], v[60:63]// 000000003244: D3D7003C 1CF20934
	v_mfma_i32_16x16x32_i8 v[60:63], a[54:55], a[6:7], v[60:63]// 00000000324C: D3D7003C 1CF20D36
	ds_read_b128 a[16:19], v2 offset:4224                      // 000000003254: DBFE1080 10000002
	ds_read_b128 a[20:23], v2 offset:4288                      // 00000000325C: DBFE10C0 14000002
	v_mfma_i32_16x16x32_i8 v[68:71], a[56:57], a[0:1], v[68:71]// 000000003264: D3D70044 1D120138
	v_mfma_i32_16x16x32_i8 v[68:71], a[58:59], a[2:3], v[68:71]// 00000000326C: D3D70044 1D12053A
	buffer_load_dwordx4 a[36:39], v42, s[84:87], 0 offen offset:1024// 000000003274: E05C1400 8095242A
	v_mfma_i32_16x16x32_i8 v[68:71], a[60:61], a[4:5], v[68:71]// 00000000327C: D3D70044 1D12093C
	v_mfma_i32_16x16x32_i8 v[68:71], a[62:63], a[6:7], v[68:71]// 000000003284: D3D70044 1D120D3E
	ds_read_b128 a[24:27], v2 offset:4736                      // 00000000328C: DBFE1280 18000002
	ds_read_b128 a[28:31], v2 offset:4800                      // 000000003294: DBFE12C0 1C000002
	v_mfma_i32_16x16x32_i8 v[64:67], a[48:49], a[8:9], v[64:67]// 00000000329C: D3D70040 1D021130
	s_add_u32 s60, 0x180, s80                                  // 0000000032A4: 803C50FF 00000180
	s_cmp_lt_u32 s60, s81                                      // 0000000032AC: BF0A513C
	s_cselect_b32 s57, s57, 0                                  // 0000000032B0: 85398039
	v_mfma_i32_16x16x32_i8 v[64:67], a[50:51], a[10:11], v[64:67]// 0000000032B4: D3D70040 1D021532
	buffer_load_dwordx4 a[40:43], v43, s[84:87], 0 offen       // 0000000032BC: E05C1000 8095282B
	s_add_u32 s60, 0x100, s80                                  // 0000000032C4: 803C50FF 00000100
	s_cmp_lt_u32 s60, s81                                      // 0000000032CC: BF0A513C
	s_cselect_b32 s58, s58, 0                                  // 0000000032D0: 853A803A
	v_mfma_i32_16x16x32_i8 v[64:67], a[52:53], a[12:13], v[64:67]// 0000000032D4: D3D70040 1D021934
	s_add_u32 s60, 0x100, s80                                  // 0000000032DC: 803C50FF 00000100
	s_cmp_lt_u32 s60, s81                                      // 0000000032E4: BF0A513C
	s_cselect_b32 s83, s83, 0                                  // 0000000032E8: 85538053
	v_mfma_i32_16x16x32_i8 v[64:67], a[54:55], a[14:15], v[64:67]// 0000000032EC: D3D70040 1D021D36
	s_add_u32 s24, s58, s24                                    // 0000000032F4: 8018183A
	s_addc_u32 s25, 0, s25                                     // 0000000032F8: 82191980
	v_mfma_i32_16x16x32_i8 v[72:75], a[56:57], a[8:9], v[72:75]// 0000000032FC: D3D70048 1D221138
	s_add_u32 s20, s57, s20                                    // 000000003304: 80141439
	s_addc_u32 s21, 0, s21                                     // 000000003308: 82151580
	v_mfma_i32_16x16x32_i8 v[72:75], a[58:59], a[10:11], v[72:75]// 00000000330C: D3D70048 1D22153A
	buffer_load_dwordx4 a[44:47], v43, s[84:87], 0 offen offset:1024// 000000003314: E05C1400 80952C2B
	s_add_u32 s84, s83, s84                                    // 00000000331C: 80545453
	s_addc_u32 s85, 0, s85                                     // 000000003320: 82555580
	v_mfma_i32_16x16x32_i8 v[72:75], a[60:61], a[12:13], v[72:75]// 000000003324: D3D70048 1D22193C
	v_mfma_i32_16x16x32_i8 v[72:75], a[62:63], a[14:15], v[72:75]// 00000000332C: D3D70048 1D221D3E
	s_addk_i32 s80, 0x80                                       // 000000003334: B7500080
	s_cmp_lt_i32 s80, s81                                      // 000000003338: BF045150
	s_cbranch_scc0 label_04CC                                  // 00000000333C: BF84027C
	s_waitcnt vmcnt(8) lgkmcnt(0)                              // 000000003340: BF8C0078
	v_mfma_i32_16x16x32_i8 v[44:47], a[64:65], a[16:17], v[44:47]// 000000003344: D3D7002C 1CB22140
	v_mfma_i32_16x16x32_i8 v[44:47], a[66:67], a[18:19], v[44:47]// 00000000334C: D3D7002C 1CB22542
	buffer_load_dwordx4 a[48:51], v42, s[24:27], 0 offen       // 000000003354: E05C1000 8086302A
	v_mfma_i32_16x16x32_i8 v[44:47], a[68:69], a[20:21], v[44:47]// 00000000335C: D3D7002C 1CB22944
	v_mfma_i32_16x16x32_i8 v[44:47], a[70:71], a[22:23], v[44:47]// 000000003364: D3D7002C 1CB22D46
	v_mfma_i32_16x16x32_i8 v[52:55], a[72:73], a[16:17], v[52:55]// 00000000336C: D3D70034 1CD22148
	v_mfma_i32_16x16x32_i8 v[52:55], a[74:75], a[18:19], v[52:55]// 000000003374: D3D70034 1CD2254A
	buffer_load_dwordx4 a[52:55], v42, s[24:27], 0 offen offset:1024// 00000000337C: E05C1400 8086342A
	v_mfma_i32_16x16x32_i8 v[52:55], a[76:77], a[20:21], v[52:55]// 000000003384: D3D70034 1CD2294C
	v_mfma_i32_16x16x32_i8 v[52:55], a[78:79], a[22:23], v[52:55]// 00000000338C: D3D70034 1CD22D4E
	v_mfma_i32_16x16x32_i8 v[48:51], a[64:65], a[24:25], v[48:51]// 000000003394: D3D70030 1CC23140
	v_mfma_i32_16x16x32_i8 v[48:51], a[66:67], a[26:27], v[48:51]// 00000000339C: D3D70030 1CC23542
	buffer_load_dwordx4 a[56:59], v43, s[24:27], 0 offen       // 0000000033A4: E05C1000 8086382B
	v_mfma_i32_16x16x32_i8 v[48:51], a[68:69], a[28:29], v[48:51]// 0000000033AC: D3D70030 1CC23944
	v_mfma_i32_16x16x32_i8 v[48:51], a[70:71], a[30:31], v[48:51]// 0000000033B4: D3D70030 1CC23D46
	v_mfma_i32_16x16x32_i8 v[56:59], a[72:73], a[24:25], v[56:59]// 0000000033BC: D3D70038 1CE23148
	v_mfma_i32_16x16x32_i8 v[56:59], a[74:75], a[26:27], v[56:59]// 0000000033C4: D3D70038 1CE2354A
	buffer_load_dwordx4 a[60:63], v43, s[24:27], 0 offen offset:1024// 0000000033CC: E05C1400 80863C2B
	buffer_load_dword v38, s[20:23], 0 offen lds               // 0000000033D4: E0511000 80050026
	s_add_u32 m0, 0x100, s48                                   // 0000000033DC: 807C30FF 00000100
	v_mfma_i32_16x16x32_i8 v[56:59], a[76:77], a[28:29], v[56:59]// 0000000033E4: D3D70038 1CE2394C
	v_mfma_i32_16x16x32_i8 v[56:59], a[78:79], a[30:31], v[56:59]// 0000000033EC: D3D70038 1CE23D4E
	buffer_load_dword v39, s[20:23], 0 offen lds               // 0000000033F4: E0511000 80050027
	s_add_u32 m0, 0x200, s48                                   // 0000000033FC: 807C30FF 00000200
	buffer_load_dword v40, s[20:23], 0 offen lds               // 000000003404: E0511000 80050028
	s_add_u32 m0, 0x300, s48                                   // 00000000340C: 807C30FF 00000300
	buffer_load_dword v41, s[20:23], 0 offen lds               // 000000003414: E0511000 80050029
	s_add_u32 m0, 0, s49                                       // 00000000341C: 807C3180
	s_waitcnt vmcnt(8)                                         // 000000003420: BF8C0F78
	s_barrier                                                  // 000000003424: BF8A0000
	v_mfma_i32_16x16x32_i8 v[60:63], a[32:33], a[16:17], v[60:63]// 000000003428: D3D7003C 1CF22120
	v_mfma_i32_16x16x32_i8 v[60:63], a[34:35], a[18:19], v[60:63]// 000000003430: D3D7003C 1CF22522
	buffer_load_dwordx4 a[64:67], v42, s[84:87], 0 offen       // 000000003438: E05C1000 8095402A
	v_mfma_i32_16x16x32_i8 v[60:63], a[36:37], a[20:21], v[60:63]// 000000003440: D3D7003C 1CF22924
	v_mfma_i32_16x16x32_i8 v[60:63], a[38:39], a[22:23], v[60:63]// 000000003448: D3D7003C 1CF22D26
	ds_read_b128 a[0:3], v2 offset:8448                        // 000000003450: DBFE2100 00000002
	ds_read_b128 a[4:7], v2 offset:8512                        // 000000003458: DBFE2140 04000002
	v_mfma_i32_16x16x32_i8 v[68:71], a[40:41], a[16:17], v[68:71]// 000000003460: D3D70044 1D122128
	v_mfma_i32_16x16x32_i8 v[68:71], a[42:43], a[18:19], v[68:71]// 000000003468: D3D70044 1D12252A
	buffer_load_dwordx4 a[68:71], v42, s[84:87], 0 offen offset:1024// 000000003470: E05C1400 8095442A
	v_mfma_i32_16x16x32_i8 v[68:71], a[44:45], a[20:21], v[68:71]// 000000003478: D3D70044 1D12292C
	v_mfma_i32_16x16x32_i8 v[68:71], a[46:47], a[22:23], v[68:71]// 000000003480: D3D70044 1D122D2E
	ds_read_b128 a[8:11], v2 offset:8960                       // 000000003488: DBFE2300 08000002
	ds_read_b128 a[12:15], v2 offset:9024                      // 000000003490: DBFE2340 0C000002
	v_mfma_i32_16x16x32_i8 v[64:67], a[32:33], a[24:25], v[64:67]// 000000003498: D3D70040 1D023120
	s_add_u32 s60, 0x180, s80                                  // 0000000034A0: 803C50FF 00000180
	s_cmp_lt_u32 s60, s81                                      // 0000000034A8: BF0A513C
	s_cselect_b32 s57, s57, 0                                  // 0000000034AC: 85398039
	v_mfma_i32_16x16x32_i8 v[64:67], a[34:35], a[26:27], v[64:67]// 0000000034B0: D3D70040 1D023522
	buffer_load_dwordx4 a[72:75], v43, s[84:87], 0 offen       // 0000000034B8: E05C1000 8095482B
	s_add_u32 s60, 0x100, s80                                  // 0000000034C0: 803C50FF 00000100
	s_cmp_lt_u32 s60, s81                                      // 0000000034C8: BF0A513C
	s_cselect_b32 s58, s58, 0                                  // 0000000034CC: 853A803A
	v_mfma_i32_16x16x32_i8 v[64:67], a[36:37], a[28:29], v[64:67]// 0000000034D0: D3D70040 1D023924
	s_add_u32 s60, 0x100, s80                                  // 0000000034D8: 803C50FF 00000100
	s_cmp_lt_u32 s60, s81                                      // 0000000034E0: BF0A513C
	s_cselect_b32 s83, s83, 0                                  // 0000000034E4: 85538053
	v_mfma_i32_16x16x32_i8 v[64:67], a[38:39], a[30:31], v[64:67]// 0000000034E8: D3D70040 1D023D26
	s_add_u32 s24, s58, s24                                    // 0000000034F0: 8018183A
	s_addc_u32 s25, 0, s25                                     // 0000000034F4: 82191980
	v_mfma_i32_16x16x32_i8 v[72:75], a[40:41], a[24:25], v[72:75]// 0000000034F8: D3D70048 1D223128
	s_add_u32 s20, s57, s20                                    // 000000003500: 80141439
	s_addc_u32 s21, 0, s21                                     // 000000003504: 82151580
	v_mfma_i32_16x16x32_i8 v[72:75], a[42:43], a[26:27], v[72:75]// 000000003508: D3D70048 1D22352A
	buffer_load_dwordx4 a[76:79], v43, s[84:87], 0 offen offset:1024// 000000003510: E05C1400 80954C2B
	s_add_u32 s84, s83, s84                                    // 000000003518: 80545453
	s_addc_u32 s85, 0, s85                                     // 00000000351C: 82555580
	v_mfma_i32_16x16x32_i8 v[72:75], a[44:45], a[28:29], v[72:75]// 000000003520: D3D70048 1D22392C
	v_mfma_i32_16x16x32_i8 v[72:75], a[46:47], a[30:31], v[72:75]// 000000003528: D3D70048 1D223D2E
	s_addk_i32 s80, 0x80                                       // 000000003530: B7500080
	s_cmp_lt_i32 s80, s81                                      // 000000003534: BF045150
	s_cbranch_scc0 label_04CC                                  // 000000003538: BF8401FD
	s_waitcnt vmcnt(8) lgkmcnt(0)                              // 00000000353C: BF8C0078
	v_mfma_i32_16x16x32_i8 v[44:47], a[48:49], a[0:1], v[44:47]// 000000003540: D3D7002C 1CB20130
	v_mfma_i32_16x16x32_i8 v[44:47], a[50:51], a[2:3], v[44:47]// 000000003548: D3D7002C 1CB20532
	buffer_load_dwordx4 a[32:35], v42, s[24:27], 0 offen       // 000000003550: E05C1000 8086202A
	v_mfma_i32_16x16x32_i8 v[44:47], a[52:53], a[4:5], v[44:47]// 000000003558: D3D7002C 1CB20934
	v_mfma_i32_16x16x32_i8 v[44:47], a[54:55], a[6:7], v[44:47]// 000000003560: D3D7002C 1CB20D36
	v_mfma_i32_16x16x32_i8 v[52:55], a[56:57], a[0:1], v[52:55]// 000000003568: D3D70034 1CD20138
	v_mfma_i32_16x16x32_i8 v[52:55], a[58:59], a[2:3], v[52:55]// 000000003570: D3D70034 1CD2053A
	buffer_load_dwordx4 a[36:39], v42, s[24:27], 0 offen offset:1024// 000000003578: E05C1400 8086242A
	v_mfma_i32_16x16x32_i8 v[52:55], a[60:61], a[4:5], v[52:55]// 000000003580: D3D70034 1CD2093C
	v_mfma_i32_16x16x32_i8 v[52:55], a[62:63], a[6:7], v[52:55]// 000000003588: D3D70034 1CD20D3E
	v_mfma_i32_16x16x32_i8 v[48:51], a[48:49], a[8:9], v[48:51]// 000000003590: D3D70030 1CC21130
	v_mfma_i32_16x16x32_i8 v[48:51], a[50:51], a[10:11], v[48:51]// 000000003598: D3D70030 1CC21532
	buffer_load_dwordx4 a[40:43], v43, s[24:27], 0 offen       // 0000000035A0: E05C1000 8086282B
	v_mfma_i32_16x16x32_i8 v[48:51], a[52:53], a[12:13], v[48:51]// 0000000035A8: D3D70030 1CC21934
	v_mfma_i32_16x16x32_i8 v[48:51], a[54:55], a[14:15], v[48:51]// 0000000035B0: D3D70030 1CC21D36
	v_mfma_i32_16x16x32_i8 v[56:59], a[56:57], a[8:9], v[56:59]// 0000000035B8: D3D70038 1CE21138
	v_mfma_i32_16x16x32_i8 v[56:59], a[58:59], a[10:11], v[56:59]// 0000000035C0: D3D70038 1CE2153A
	buffer_load_dwordx4 a[44:47], v43, s[24:27], 0 offen offset:1024// 0000000035C8: E05C1400 80862C2B
	buffer_load_dword v38, s[20:23], 0 offen lds               // 0000000035D0: E0511000 80050026
	s_add_u32 m0, 0x100, s49                                   // 0000000035D8: 807C31FF 00000100
	v_mfma_i32_16x16x32_i8 v[56:59], a[60:61], a[12:13], v[56:59]// 0000000035E0: D3D70038 1CE2193C
	v_mfma_i32_16x16x32_i8 v[56:59], a[62:63], a[14:15], v[56:59]// 0000000035E8: D3D70038 1CE21D3E
	buffer_load_dword v39, s[20:23], 0 offen lds               // 0000000035F0: E0511000 80050027
	s_add_u32 m0, 0x200, s49                                   // 0000000035F8: 807C31FF 00000200
	buffer_load_dword v40, s[20:23], 0 offen lds               // 000000003600: E0511000 80050028
	s_add_u32 m0, 0x300, s49                                   // 000000003608: 807C31FF 00000300
	buffer_load_dword v41, s[20:23], 0 offen lds               // 000000003610: E0511000 80050029
	s_add_u32 m0, 0, s50                                       // 000000003618: 807C3280
	s_waitcnt vmcnt(8)                                         // 00000000361C: BF8C0F78
	s_barrier                                                  // 000000003620: BF8A0000
	v_mfma_i32_16x16x32_i8 v[60:63], a[64:65], a[0:1], v[60:63]// 000000003624: D3D7003C 1CF20140
	v_mfma_i32_16x16x32_i8 v[60:63], a[66:67], a[2:3], v[60:63]// 00000000362C: D3D7003C 1CF20542
	buffer_load_dwordx4 a[48:51], v42, s[84:87], 0 offen       // 000000003634: E05C1000 8095302A
	v_mfma_i32_16x16x32_i8 v[60:63], a[68:69], a[4:5], v[60:63]// 00000000363C: D3D7003C 1CF20944
	v_mfma_i32_16x16x32_i8 v[60:63], a[70:71], a[6:7], v[60:63]// 000000003644: D3D7003C 1CF20D46
	ds_read_b128 a[16:19], v2                                  // 00000000364C: DBFE0000 10000002
	ds_read_b128 a[20:23], v2 offset:64                        // 000000003654: DBFE0040 14000002
	v_mfma_i32_16x16x32_i8 v[68:71], a[72:73], a[0:1], v[68:71]// 00000000365C: D3D70044 1D120148
	v_mfma_i32_16x16x32_i8 v[68:71], a[74:75], a[2:3], v[68:71]// 000000003664: D3D70044 1D12054A
	buffer_load_dwordx4 a[52:55], v42, s[84:87], 0 offen offset:1024// 00000000366C: E05C1400 8095342A
	v_mfma_i32_16x16x32_i8 v[68:71], a[76:77], a[4:5], v[68:71]// 000000003674: D3D70044 1D12094C
	v_mfma_i32_16x16x32_i8 v[68:71], a[78:79], a[6:7], v[68:71]// 00000000367C: D3D70044 1D120D4E
	ds_read_b128 a[24:27], v2 offset:512                       // 000000003684: DBFE0200 18000002
	ds_read_b128 a[28:31], v2 offset:576                       // 00000000368C: DBFE0240 1C000002
	v_mfma_i32_16x16x32_i8 v[64:67], a[64:65], a[8:9], v[64:67]// 000000003694: D3D70040 1D021140
	s_add_u32 s60, 0x180, s80                                  // 00000000369C: 803C50FF 00000180
	s_cmp_lt_u32 s60, s81                                      // 0000000036A4: BF0A513C
	s_cselect_b32 s57, s57, 0                                  // 0000000036A8: 85398039
	v_mfma_i32_16x16x32_i8 v[64:67], a[66:67], a[10:11], v[64:67]// 0000000036AC: D3D70040 1D021542
	buffer_load_dwordx4 a[56:59], v43, s[84:87], 0 offen       // 0000000036B4: E05C1000 8095382B
	s_add_u32 s60, 0x100, s80                                  // 0000000036BC: 803C50FF 00000100
	s_cmp_lt_u32 s60, s81                                      // 0000000036C4: BF0A513C
	s_cselect_b32 s58, s58, 0                                  // 0000000036C8: 853A803A
	v_mfma_i32_16x16x32_i8 v[64:67], a[68:69], a[12:13], v[64:67]// 0000000036CC: D3D70040 1D021944
	s_add_u32 s60, 0x100, s80                                  // 0000000036D4: 803C50FF 00000100
	s_cmp_lt_u32 s60, s81                                      // 0000000036DC: BF0A513C
	s_cselect_b32 s83, s83, 0                                  // 0000000036E0: 85538053
	v_mfma_i32_16x16x32_i8 v[64:67], a[70:71], a[14:15], v[64:67]// 0000000036E4: D3D70040 1D021D46
	s_add_u32 s24, s58, s24                                    // 0000000036EC: 8018183A
	s_addc_u32 s25, 0, s25                                     // 0000000036F0: 82191980
	v_mfma_i32_16x16x32_i8 v[72:75], a[72:73], a[8:9], v[72:75]// 0000000036F4: D3D70048 1D221148
	s_add_u32 s20, s57, s20                                    // 0000000036FC: 80141439
	s_addc_u32 s21, 0, s21                                     // 000000003700: 82151580
	v_mfma_i32_16x16x32_i8 v[72:75], a[74:75], a[10:11], v[72:75]// 000000003704: D3D70048 1D22154A
	buffer_load_dwordx4 a[60:63], v43, s[84:87], 0 offen offset:1024// 00000000370C: E05C1400 80953C2B
	s_add_u32 s84, s83, s84                                    // 000000003714: 80545453
	s_addc_u32 s85, 0, s85                                     // 000000003718: 82555580
	v_mfma_i32_16x16x32_i8 v[72:75], a[76:77], a[12:13], v[72:75]// 00000000371C: D3D70048 1D22194C
	v_mfma_i32_16x16x32_i8 v[72:75], a[78:79], a[14:15], v[72:75]// 000000003724: D3D70048 1D221D4E
	s_addk_i32 s80, 0x80                                       // 00000000372C: B7500080
	s_cmp_lt_i32 s80, s81                                      // 000000003730: BF045150
	s_cbranch_scc0 label_04CC                                  // 000000003734: BF84017E
	s_waitcnt vmcnt(8) lgkmcnt(0)                              // 000000003738: BF8C0078
	v_mfma_i32_16x16x32_i8 v[44:47], a[32:33], a[16:17], v[44:47]// 00000000373C: D3D7002C 1CB22120
	v_mfma_i32_16x16x32_i8 v[44:47], a[34:35], a[18:19], v[44:47]// 000000003744: D3D7002C 1CB22522
	buffer_load_dwordx4 a[64:67], v42, s[24:27], 0 offen       // 00000000374C: E05C1000 8086402A
	v_mfma_i32_16x16x32_i8 v[44:47], a[36:37], a[20:21], v[44:47]// 000000003754: D3D7002C 1CB22924
	v_mfma_i32_16x16x32_i8 v[44:47], a[38:39], a[22:23], v[44:47]// 00000000375C: D3D7002C 1CB22D26
	v_mfma_i32_16x16x32_i8 v[52:55], a[40:41], a[16:17], v[52:55]// 000000003764: D3D70034 1CD22128
	v_mfma_i32_16x16x32_i8 v[52:55], a[42:43], a[18:19], v[52:55]// 00000000376C: D3D70034 1CD2252A
	buffer_load_dwordx4 a[68:71], v42, s[24:27], 0 offen offset:1024// 000000003774: E05C1400 8086442A
	v_mfma_i32_16x16x32_i8 v[52:55], a[44:45], a[20:21], v[52:55]// 00000000377C: D3D70034 1CD2292C
	v_mfma_i32_16x16x32_i8 v[52:55], a[46:47], a[22:23], v[52:55]// 000000003784: D3D70034 1CD22D2E
	v_mfma_i32_16x16x32_i8 v[48:51], a[32:33], a[24:25], v[48:51]// 00000000378C: D3D70030 1CC23120
	v_mfma_i32_16x16x32_i8 v[48:51], a[34:35], a[26:27], v[48:51]// 000000003794: D3D70030 1CC23522
	buffer_load_dwordx4 a[72:75], v43, s[24:27], 0 offen       // 00000000379C: E05C1000 8086482B
	v_mfma_i32_16x16x32_i8 v[48:51], a[36:37], a[28:29], v[48:51]// 0000000037A4: D3D70030 1CC23924
	v_mfma_i32_16x16x32_i8 v[48:51], a[38:39], a[30:31], v[48:51]// 0000000037AC: D3D70030 1CC23D26
	v_mfma_i32_16x16x32_i8 v[56:59], a[40:41], a[24:25], v[56:59]// 0000000037B4: D3D70038 1CE23128
	v_mfma_i32_16x16x32_i8 v[56:59], a[42:43], a[26:27], v[56:59]// 0000000037BC: D3D70038 1CE2352A
	buffer_load_dwordx4 a[76:79], v43, s[24:27], 0 offen offset:1024// 0000000037C4: E05C1400 80864C2B
	buffer_load_dword v38, s[20:23], 0 offen lds               // 0000000037CC: E0511000 80050026
	s_add_u32 m0, 0x100, s50                                   // 0000000037D4: 807C32FF 00000100
	v_mfma_i32_16x16x32_i8 v[56:59], a[44:45], a[28:29], v[56:59]// 0000000037DC: D3D70038 1CE2392C
	v_mfma_i32_16x16x32_i8 v[56:59], a[46:47], a[30:31], v[56:59]// 0000000037E4: D3D70038 1CE23D2E
	buffer_load_dword v39, s[20:23], 0 offen lds               // 0000000037EC: E0511000 80050027
	s_add_u32 m0, 0x200, s50                                   // 0000000037F4: 807C32FF 00000200
	buffer_load_dword v40, s[20:23], 0 offen lds               // 0000000037FC: E0511000 80050028
	s_add_u32 m0, 0x300, s50                                   // 000000003804: 807C32FF 00000300
	buffer_load_dword v41, s[20:23], 0 offen lds               // 00000000380C: E0511000 80050029
	s_add_u32 m0, 0, s48                                       // 000000003814: 807C3080
	s_waitcnt vmcnt(8)                                         // 000000003818: BF8C0F78
	s_barrier                                                  // 00000000381C: BF8A0000
	v_mfma_i32_16x16x32_i8 v[60:63], a[48:49], a[16:17], v[60:63]// 000000003820: D3D7003C 1CF22130
	v_mfma_i32_16x16x32_i8 v[60:63], a[50:51], a[18:19], v[60:63]// 000000003828: D3D7003C 1CF22532
	buffer_load_dwordx4 a[32:35], v42, s[84:87], 0 offen       // 000000003830: E05C1000 8095202A
	v_mfma_i32_16x16x32_i8 v[60:63], a[52:53], a[20:21], v[60:63]// 000000003838: D3D7003C 1CF22934
	v_mfma_i32_16x16x32_i8 v[60:63], a[54:55], a[22:23], v[60:63]// 000000003840: D3D7003C 1CF22D36
	ds_read_b128 a[0:3], v2 offset:4224                        // 000000003848: DBFE1080 00000002
	ds_read_b128 a[4:7], v2 offset:4288                        // 000000003850: DBFE10C0 04000002
	v_mfma_i32_16x16x32_i8 v[68:71], a[56:57], a[16:17], v[68:71]// 000000003858: D3D70044 1D122138
	v_mfma_i32_16x16x32_i8 v[68:71], a[58:59], a[18:19], v[68:71]// 000000003860: D3D70044 1D12253A
	buffer_load_dwordx4 a[36:39], v42, s[84:87], 0 offen offset:1024// 000000003868: E05C1400 8095242A
	v_mfma_i32_16x16x32_i8 v[68:71], a[60:61], a[20:21], v[68:71]// 000000003870: D3D70044 1D12293C
	v_mfma_i32_16x16x32_i8 v[68:71], a[62:63], a[22:23], v[68:71]// 000000003878: D3D70044 1D122D3E
	ds_read_b128 a[8:11], v2 offset:4736                       // 000000003880: DBFE1280 08000002
	ds_read_b128 a[12:15], v2 offset:4800                      // 000000003888: DBFE12C0 0C000002
	v_mfma_i32_16x16x32_i8 v[64:67], a[48:49], a[24:25], v[64:67]// 000000003890: D3D70040 1D023130
	s_add_u32 s60, 0x180, s80                                  // 000000003898: 803C50FF 00000180
	s_cmp_lt_u32 s60, s81                                      // 0000000038A0: BF0A513C
	s_cselect_b32 s57, s57, 0                                  // 0000000038A4: 85398039
	v_mfma_i32_16x16x32_i8 v[64:67], a[50:51], a[26:27], v[64:67]// 0000000038A8: D3D70040 1D023532
	buffer_load_dwordx4 a[40:43], v43, s[84:87], 0 offen       // 0000000038B0: E05C1000 8095282B
	s_add_u32 s60, 0x100, s80                                  // 0000000038B8: 803C50FF 00000100
	s_cmp_lt_u32 s60, s81                                      // 0000000038C0: BF0A513C
	s_cselect_b32 s58, s58, 0                                  // 0000000038C4: 853A803A
	v_mfma_i32_16x16x32_i8 v[64:67], a[52:53], a[28:29], v[64:67]// 0000000038C8: D3D70040 1D023934
	s_add_u32 s60, 0x100, s80                                  // 0000000038D0: 803C50FF 00000100
	s_cmp_lt_u32 s60, s81                                      // 0000000038D8: BF0A513C
	s_cselect_b32 s83, s83, 0                                  // 0000000038DC: 85538053
	v_mfma_i32_16x16x32_i8 v[64:67], a[54:55], a[30:31], v[64:67]// 0000000038E0: D3D70040 1D023D36
	s_add_u32 s24, s58, s24                                    // 0000000038E8: 8018183A
	s_addc_u32 s25, 0, s25                                     // 0000000038EC: 82191980
	v_mfma_i32_16x16x32_i8 v[72:75], a[56:57], a[24:25], v[72:75]// 0000000038F0: D3D70048 1D223138
	s_add_u32 s20, s57, s20                                    // 0000000038F8: 80141439
	s_addc_u32 s21, 0, s21                                     // 0000000038FC: 82151580
	v_mfma_i32_16x16x32_i8 v[72:75], a[58:59], a[26:27], v[72:75]// 000000003900: D3D70048 1D22353A
	buffer_load_dwordx4 a[44:47], v43, s[84:87], 0 offen offset:1024// 000000003908: E05C1400 80952C2B
	s_add_u32 s84, s83, s84                                    // 000000003910: 80545453
	s_addc_u32 s85, 0, s85                                     // 000000003914: 82555580
	v_mfma_i32_16x16x32_i8 v[72:75], a[60:61], a[28:29], v[72:75]// 000000003918: D3D70048 1D22393C
	v_mfma_i32_16x16x32_i8 v[72:75], a[62:63], a[30:31], v[72:75]// 000000003920: D3D70048 1D223D3E
	s_addk_i32 s80, 0x80                                       // 000000003928: B7500080
	s_cmp_lt_i32 s80, s81                                      // 00000000392C: BF045150
	s_cbranch_scc0 label_04CC                                  // 000000003930: BF8400FF
	s_waitcnt vmcnt(8) lgkmcnt(0)                              // 000000003934: BF8C0078
	v_mfma_i32_16x16x32_i8 v[44:47], a[64:65], a[0:1], v[44:47]// 000000003938: D3D7002C 1CB20140
	v_mfma_i32_16x16x32_i8 v[44:47], a[66:67], a[2:3], v[44:47]// 000000003940: D3D7002C 1CB20542
	buffer_load_dwordx4 a[48:51], v42, s[24:27], 0 offen       // 000000003948: E05C1000 8086302A
	v_mfma_i32_16x16x32_i8 v[44:47], a[68:69], a[4:5], v[44:47]// 000000003950: D3D7002C 1CB20944
	v_mfma_i32_16x16x32_i8 v[44:47], a[70:71], a[6:7], v[44:47]// 000000003958: D3D7002C 1CB20D46
	v_mfma_i32_16x16x32_i8 v[52:55], a[72:73], a[0:1], v[52:55]// 000000003960: D3D70034 1CD20148
	v_mfma_i32_16x16x32_i8 v[52:55], a[74:75], a[2:3], v[52:55]// 000000003968: D3D70034 1CD2054A
	buffer_load_dwordx4 a[52:55], v42, s[24:27], 0 offen offset:1024// 000000003970: E05C1400 8086342A
	v_mfma_i32_16x16x32_i8 v[52:55], a[76:77], a[4:5], v[52:55]// 000000003978: D3D70034 1CD2094C
	v_mfma_i32_16x16x32_i8 v[52:55], a[78:79], a[6:7], v[52:55]// 000000003980: D3D70034 1CD20D4E
	v_mfma_i32_16x16x32_i8 v[48:51], a[64:65], a[8:9], v[48:51]// 000000003988: D3D70030 1CC21140
	v_mfma_i32_16x16x32_i8 v[48:51], a[66:67], a[10:11], v[48:51]// 000000003990: D3D70030 1CC21542
	buffer_load_dwordx4 a[56:59], v43, s[24:27], 0 offen       // 000000003998: E05C1000 8086382B
	v_mfma_i32_16x16x32_i8 v[48:51], a[68:69], a[12:13], v[48:51]// 0000000039A0: D3D70030 1CC21944
	v_mfma_i32_16x16x32_i8 v[48:51], a[70:71], a[14:15], v[48:51]// 0000000039A8: D3D70030 1CC21D46
	v_mfma_i32_16x16x32_i8 v[56:59], a[72:73], a[8:9], v[56:59]// 0000000039B0: D3D70038 1CE21148
	v_mfma_i32_16x16x32_i8 v[56:59], a[74:75], a[10:11], v[56:59]// 0000000039B8: D3D70038 1CE2154A
	buffer_load_dwordx4 a[60:63], v43, s[24:27], 0 offen offset:1024// 0000000039C0: E05C1400 80863C2B
	buffer_load_dword v38, s[20:23], 0 offen lds               // 0000000039C8: E0511000 80050026
	s_add_u32 m0, 0x100, s48                                   // 0000000039D0: 807C30FF 00000100
	v_mfma_i32_16x16x32_i8 v[56:59], a[76:77], a[12:13], v[56:59]// 0000000039D8: D3D70038 1CE2194C
	v_mfma_i32_16x16x32_i8 v[56:59], a[78:79], a[14:15], v[56:59]// 0000000039E0: D3D70038 1CE21D4E
	buffer_load_dword v39, s[20:23], 0 offen lds               // 0000000039E8: E0511000 80050027
	s_add_u32 m0, 0x200, s48                                   // 0000000039F0: 807C30FF 00000200
	buffer_load_dword v40, s[20:23], 0 offen lds               // 0000000039F8: E0511000 80050028
	s_add_u32 m0, 0x300, s48                                   // 000000003A00: 807C30FF 00000300
	buffer_load_dword v41, s[20:23], 0 offen lds               // 000000003A08: E0511000 80050029
	s_add_u32 m0, 0, s49                                       // 000000003A10: 807C3180
	s_waitcnt vmcnt(8)                                         // 000000003A14: BF8C0F78
	s_barrier                                                  // 000000003A18: BF8A0000
	v_mfma_i32_16x16x32_i8 v[60:63], a[32:33], a[0:1], v[60:63]// 000000003A1C: D3D7003C 1CF20120
	v_mfma_i32_16x16x32_i8 v[60:63], a[34:35], a[2:3], v[60:63]// 000000003A24: D3D7003C 1CF20522
	buffer_load_dwordx4 a[64:67], v42, s[84:87], 0 offen       // 000000003A2C: E05C1000 8095402A
	v_mfma_i32_16x16x32_i8 v[60:63], a[36:37], a[4:5], v[60:63]// 000000003A34: D3D7003C 1CF20924
	v_mfma_i32_16x16x32_i8 v[60:63], a[38:39], a[6:7], v[60:63]// 000000003A3C: D3D7003C 1CF20D26
	ds_read_b128 a[16:19], v2 offset:8448                      // 000000003A44: DBFE2100 10000002
	ds_read_b128 a[20:23], v2 offset:8512                      // 000000003A4C: DBFE2140 14000002
	v_mfma_i32_16x16x32_i8 v[68:71], a[40:41], a[0:1], v[68:71]// 000000003A54: D3D70044 1D120128
	v_mfma_i32_16x16x32_i8 v[68:71], a[42:43], a[2:3], v[68:71]// 000000003A5C: D3D70044 1D12052A
	buffer_load_dwordx4 a[68:71], v42, s[84:87], 0 offen offset:1024// 000000003A64: E05C1400 8095442A
	v_mfma_i32_16x16x32_i8 v[68:71], a[44:45], a[4:5], v[68:71]// 000000003A6C: D3D70044 1D12092C
	v_mfma_i32_16x16x32_i8 v[68:71], a[46:47], a[6:7], v[68:71]// 000000003A74: D3D70044 1D120D2E
	ds_read_b128 a[24:27], v2 offset:8960                      // 000000003A7C: DBFE2300 18000002
	ds_read_b128 a[28:31], v2 offset:9024                      // 000000003A84: DBFE2340 1C000002
	v_mfma_i32_16x16x32_i8 v[64:67], a[32:33], a[8:9], v[64:67]// 000000003A8C: D3D70040 1D021120
	s_add_u32 s60, 0x180, s80                                  // 000000003A94: 803C50FF 00000180
	s_cmp_lt_u32 s60, s81                                      // 000000003A9C: BF0A513C
	s_cselect_b32 s57, s57, 0                                  // 000000003AA0: 85398039
	v_mfma_i32_16x16x32_i8 v[64:67], a[34:35], a[10:11], v[64:67]// 000000003AA4: D3D70040 1D021522
	buffer_load_dwordx4 a[72:75], v43, s[84:87], 0 offen       // 000000003AAC: E05C1000 8095482B
	s_add_u32 s60, 0x100, s80                                  // 000000003AB4: 803C50FF 00000100
	s_cmp_lt_u32 s60, s81                                      // 000000003ABC: BF0A513C
	s_cselect_b32 s58, s58, 0                                  // 000000003AC0: 853A803A
	v_mfma_i32_16x16x32_i8 v[64:67], a[36:37], a[12:13], v[64:67]// 000000003AC4: D3D70040 1D021924
	s_add_u32 s60, 0x100, s80                                  // 000000003ACC: 803C50FF 00000100
	s_cmp_lt_u32 s60, s81                                      // 000000003AD4: BF0A513C
	s_cselect_b32 s83, s83, 0                                  // 000000003AD8: 85538053
	v_mfma_i32_16x16x32_i8 v[64:67], a[38:39], a[14:15], v[64:67]// 000000003ADC: D3D70040 1D021D26
	s_add_u32 s24, s58, s24                                    // 000000003AE4: 8018183A
	s_addc_u32 s25, 0, s25                                     // 000000003AE8: 82191980
	v_mfma_i32_16x16x32_i8 v[72:75], a[40:41], a[8:9], v[72:75]// 000000003AEC: D3D70048 1D221128
	s_add_u32 s20, s57, s20                                    // 000000003AF4: 80141439
	s_addc_u32 s21, 0, s21                                     // 000000003AF8: 82151580
	v_mfma_i32_16x16x32_i8 v[72:75], a[42:43], a[10:11], v[72:75]// 000000003AFC: D3D70048 1D22152A
	buffer_load_dwordx4 a[76:79], v43, s[84:87], 0 offen offset:1024// 000000003B04: E05C1400 80954C2B
	s_add_u32 s84, s83, s84                                    // 000000003B0C: 80545453
	s_addc_u32 s85, 0, s85                                     // 000000003B10: 82555580
	v_mfma_i32_16x16x32_i8 v[72:75], a[44:45], a[12:13], v[72:75]// 000000003B14: D3D70048 1D22192C
	v_mfma_i32_16x16x32_i8 v[72:75], a[46:47], a[14:15], v[72:75]// 000000003B1C: D3D70048 1D221D2E
	s_addk_i32 s80, 0x80                                       // 000000003B24: B7500080
	s_cmp_lt_i32 s80, s81                                      // 000000003B28: BF045150
	s_cbranch_scc0 label_04CC                                  // 000000003B2C: BF840080
	s_waitcnt vmcnt(8) lgkmcnt(0)                              // 000000003B30: BF8C0078
	v_mfma_i32_16x16x32_i8 v[44:47], a[48:49], a[16:17], v[44:47]// 000000003B34: D3D7002C 1CB22130
	v_mfma_i32_16x16x32_i8 v[44:47], a[50:51], a[18:19], v[44:47]// 000000003B3C: D3D7002C 1CB22532
	buffer_load_dwordx4 a[32:35], v42, s[24:27], 0 offen       // 000000003B44: E05C1000 8086202A
	v_mfma_i32_16x16x32_i8 v[44:47], a[52:53], a[20:21], v[44:47]// 000000003B4C: D3D7002C 1CB22934
	v_mfma_i32_16x16x32_i8 v[44:47], a[54:55], a[22:23], v[44:47]// 000000003B54: D3D7002C 1CB22D36
	v_mfma_i32_16x16x32_i8 v[52:55], a[56:57], a[16:17], v[52:55]// 000000003B5C: D3D70034 1CD22138
	v_mfma_i32_16x16x32_i8 v[52:55], a[58:59], a[18:19], v[52:55]// 000000003B64: D3D70034 1CD2253A
	buffer_load_dwordx4 a[36:39], v42, s[24:27], 0 offen offset:1024// 000000003B6C: E05C1400 8086242A
	v_mfma_i32_16x16x32_i8 v[52:55], a[60:61], a[20:21], v[52:55]// 000000003B74: D3D70034 1CD2293C
	v_mfma_i32_16x16x32_i8 v[52:55], a[62:63], a[22:23], v[52:55]// 000000003B7C: D3D70034 1CD22D3E
	v_mfma_i32_16x16x32_i8 v[48:51], a[48:49], a[24:25], v[48:51]// 000000003B84: D3D70030 1CC23130
	v_mfma_i32_16x16x32_i8 v[48:51], a[50:51], a[26:27], v[48:51]// 000000003B8C: D3D70030 1CC23532
	buffer_load_dwordx4 a[40:43], v43, s[24:27], 0 offen       // 000000003B94: E05C1000 8086282B
	v_mfma_i32_16x16x32_i8 v[48:51], a[52:53], a[28:29], v[48:51]// 000000003B9C: D3D70030 1CC23934
	v_mfma_i32_16x16x32_i8 v[48:51], a[54:55], a[30:31], v[48:51]// 000000003BA4: D3D70030 1CC23D36
	v_mfma_i32_16x16x32_i8 v[56:59], a[56:57], a[24:25], v[56:59]// 000000003BAC: D3D70038 1CE23138
	v_mfma_i32_16x16x32_i8 v[56:59], a[58:59], a[26:27], v[56:59]// 000000003BB4: D3D70038 1CE2353A
	buffer_load_dwordx4 a[44:47], v43, s[24:27], 0 offen offset:1024// 000000003BBC: E05C1400 80862C2B
	buffer_load_dword v38, s[20:23], 0 offen lds               // 000000003BC4: E0511000 80050026
	s_add_u32 m0, 0x100, s49                                   // 000000003BCC: 807C31FF 00000100
	v_mfma_i32_16x16x32_i8 v[56:59], a[60:61], a[28:29], v[56:59]// 000000003BD4: D3D70038 1CE2393C
	v_mfma_i32_16x16x32_i8 v[56:59], a[62:63], a[30:31], v[56:59]// 000000003BDC: D3D70038 1CE23D3E
	buffer_load_dword v39, s[20:23], 0 offen lds               // 000000003BE4: E0511000 80050027
	s_add_u32 m0, 0x200, s49                                   // 000000003BEC: 807C31FF 00000200
	buffer_load_dword v40, s[20:23], 0 offen lds               // 000000003BF4: E0511000 80050028
	s_add_u32 m0, 0x300, s49                                   // 000000003BFC: 807C31FF 00000300
	buffer_load_dword v41, s[20:23], 0 offen lds               // 000000003C04: E0511000 80050029
	s_add_u32 m0, 0, s50                                       // 000000003C0C: 807C3280
	s_waitcnt vmcnt(8)                                         // 000000003C10: BF8C0F78
	s_barrier                                                  // 000000003C14: BF8A0000
	v_mfma_i32_16x16x32_i8 v[60:63], a[64:65], a[16:17], v[60:63]// 000000003C18: D3D7003C 1CF22140
	v_mfma_i32_16x16x32_i8 v[60:63], a[66:67], a[18:19], v[60:63]// 000000003C20: D3D7003C 1CF22542
	buffer_load_dwordx4 a[48:51], v42, s[84:87], 0 offen       // 000000003C28: E05C1000 8095302A
	v_mfma_i32_16x16x32_i8 v[60:63], a[68:69], a[20:21], v[60:63]// 000000003C30: D3D7003C 1CF22944
	v_mfma_i32_16x16x32_i8 v[60:63], a[70:71], a[22:23], v[60:63]// 000000003C38: D3D7003C 1CF22D46
	ds_read_b128 a[0:3], v2                                    // 000000003C40: DBFE0000 00000002
	ds_read_b128 a[4:7], v2 offset:64                          // 000000003C48: DBFE0040 04000002
	v_mfma_i32_16x16x32_i8 v[68:71], a[72:73], a[16:17], v[68:71]// 000000003C50: D3D70044 1D122148
	v_mfma_i32_16x16x32_i8 v[68:71], a[74:75], a[18:19], v[68:71]// 000000003C58: D3D70044 1D12254A
	buffer_load_dwordx4 a[52:55], v42, s[84:87], 0 offen offset:1024// 000000003C60: E05C1400 8095342A
	v_mfma_i32_16x16x32_i8 v[68:71], a[76:77], a[20:21], v[68:71]// 000000003C68: D3D70044 1D12294C
	v_mfma_i32_16x16x32_i8 v[68:71], a[78:79], a[22:23], v[68:71]// 000000003C70: D3D70044 1D122D4E
	ds_read_b128 a[8:11], v2 offset:512                        // 000000003C78: DBFE0200 08000002
	ds_read_b128 a[12:15], v2 offset:576                       // 000000003C80: DBFE0240 0C000002
	v_mfma_i32_16x16x32_i8 v[64:67], a[64:65], a[24:25], v[64:67]// 000000003C88: D3D70040 1D023140
	s_add_u32 s60, 0x180, s80                                  // 000000003C90: 803C50FF 00000180
	s_cmp_lt_u32 s60, s81                                      // 000000003C98: BF0A513C
	s_cselect_b32 s57, s57, 0                                  // 000000003C9C: 85398039
	v_mfma_i32_16x16x32_i8 v[64:67], a[66:67], a[26:27], v[64:67]// 000000003CA0: D3D70040 1D023542
	buffer_load_dwordx4 a[56:59], v43, s[84:87], 0 offen       // 000000003CA8: E05C1000 8095382B
	s_add_u32 s60, 0x100, s80                                  // 000000003CB0: 803C50FF 00000100
	s_cmp_lt_u32 s60, s81                                      // 000000003CB8: BF0A513C
	s_cselect_b32 s58, s58, 0                                  // 000000003CBC: 853A803A
	v_mfma_i32_16x16x32_i8 v[64:67], a[68:69], a[28:29], v[64:67]// 000000003CC0: D3D70040 1D023944
	s_add_u32 s60, 0x100, s80                                  // 000000003CC8: 803C50FF 00000100
	s_cmp_lt_u32 s60, s81                                      // 000000003CD0: BF0A513C
	s_cselect_b32 s83, s83, 0                                  // 000000003CD4: 85538053
	v_mfma_i32_16x16x32_i8 v[64:67], a[70:71], a[30:31], v[64:67]// 000000003CD8: D3D70040 1D023D46
	s_add_u32 s24, s58, s24                                    // 000000003CE0: 8018183A
	s_addc_u32 s25, 0, s25                                     // 000000003CE4: 82191980
	v_mfma_i32_16x16x32_i8 v[72:75], a[72:73], a[24:25], v[72:75]// 000000003CE8: D3D70048 1D223148
	s_add_u32 s20, s57, s20                                    // 000000003CF0: 80141439
	s_addc_u32 s21, 0, s21                                     // 000000003CF4: 82151580
	v_mfma_i32_16x16x32_i8 v[72:75], a[74:75], a[26:27], v[72:75]// 000000003CF8: D3D70048 1D22354A
	buffer_load_dwordx4 a[60:63], v43, s[84:87], 0 offen offset:1024// 000000003D00: E05C1400 80953C2B
	s_add_u32 s84, s83, s84                                    // 000000003D08: 80545453
	s_addc_u32 s85, 0, s85                                     // 000000003D0C: 82555580
	v_mfma_i32_16x16x32_i8 v[72:75], a[76:77], a[28:29], v[72:75]// 000000003D10: D3D70048 1D22394C
	v_mfma_i32_16x16x32_i8 v[72:75], a[78:79], a[30:31], v[72:75]// 000000003D18: D3D70048 1D223D4E
	s_addk_i32 s80, 0x80                                       // 000000003D20: B7500080
	s_cmp_lt_i32 s80, s81                                      // 000000003D24: BF045150
	s_cbranch_scc0 label_04CC                                  // 000000003D28: BF840001
	s_branch label_01D1                                        // 000000003D2C: BF82FD05

0000000000003d30 <label_04CC>:
	v_cvt_f32_i32_e32 v44, v44                                 // 000000003D30: 7E580B2C
	v_cvt_f32_i32_e32 v45, v45                                 // 000000003D34: 7E5A0B2D
	v_cvt_f32_i32_e32 v46, v46                                 // 000000003D38: 7E5C0B2E
	v_cvt_f32_i32_e32 v47, v47                                 // 000000003D3C: 7E5E0B2F
	v_mul_f32_dpp v44, v24, v44 row_newbcast:0 row_mask:0xf bank_mask:0xf// 000000003D40: 0A5858FA FF015018
	v_mul_f32_dpp v45, v24, v45 row_newbcast:1 row_mask:0xf bank_mask:0xf// 000000003D48: 0A5A5AFA FF015118
	v_mul_f32_dpp v46, v24, v46 row_newbcast:2 row_mask:0xf bank_mask:0xf// 000000003D50: 0A5C5CFA FF015218
	v_mul_f32_dpp v47, v24, v47 row_newbcast:3 row_mask:0xf bank_mask:0xf// 000000003D58: 0A5E5EFA FF015318
	v_cvt_f32_i32_e32 v48, v48                                 // 000000003D60: 7E600B30
	v_cvt_f32_i32_e32 v49, v49                                 // 000000003D64: 7E620B31
	v_cvt_f32_i32_e32 v50, v50                                 // 000000003D68: 7E640B32
	v_cvt_f32_i32_e32 v51, v51                                 // 000000003D6C: 7E660B33
	v_mul_f32_dpp v48, v24, v48 row_newbcast:0 row_mask:0xf bank_mask:0xf// 000000003D70: 0A6060FA FF015018
	v_mul_f32_dpp v49, v24, v49 row_newbcast:1 row_mask:0xf bank_mask:0xf// 000000003D78: 0A6262FA FF015118
	v_mul_f32_dpp v50, v24, v50 row_newbcast:2 row_mask:0xf bank_mask:0xf// 000000003D80: 0A6464FA FF015218
	v_mul_f32_dpp v51, v24, v51 row_newbcast:3 row_mask:0xf bank_mask:0xf// 000000003D88: 0A6666FA FF015318
	v_cvt_f32_i32_e32 v52, v52                                 // 000000003D90: 7E680B34
	v_cvt_f32_i32_e32 v53, v53                                 // 000000003D94: 7E6A0B35
	v_cvt_f32_i32_e32 v54, v54                                 // 000000003D98: 7E6C0B36
	v_cvt_f32_i32_e32 v55, v55                                 // 000000003D9C: 7E6E0B37
	v_mul_f32_dpp v52, v24, v52 row_newbcast:4 row_mask:0xf bank_mask:0xf// 000000003DA0: 0A6868FA FF015418
	v_mul_f32_dpp v53, v24, v53 row_newbcast:5 row_mask:0xf bank_mask:0xf// 000000003DA8: 0A6A6AFA FF015518
	v_mul_f32_dpp v54, v24, v54 row_newbcast:6 row_mask:0xf bank_mask:0xf// 000000003DB0: 0A6C6CFA FF015618
	v_mul_f32_dpp v55, v24, v55 row_newbcast:7 row_mask:0xf bank_mask:0xf// 000000003DB8: 0A6E6EFA FF015718
	v_cvt_f32_i32_e32 v56, v56                                 // 000000003DC0: 7E700B38
	v_cvt_f32_i32_e32 v57, v57                                 // 000000003DC4: 7E720B39
	v_cvt_f32_i32_e32 v58, v58                                 // 000000003DC8: 7E740B3A
	v_cvt_f32_i32_e32 v59, v59                                 // 000000003DCC: 7E760B3B
	v_mul_f32_dpp v56, v24, v56 row_newbcast:4 row_mask:0xf bank_mask:0xf// 000000003DD0: 0A7070FA FF015418
	v_mul_f32_dpp v57, v24, v57 row_newbcast:5 row_mask:0xf bank_mask:0xf// 000000003DD8: 0A7272FA FF015518
	v_mul_f32_dpp v58, v24, v58 row_newbcast:6 row_mask:0xf bank_mask:0xf// 000000003DE0: 0A7474FA FF015618
	v_mul_f32_dpp v59, v24, v59 row_newbcast:7 row_mask:0xf bank_mask:0xf// 000000003DE8: 0A7676FA FF015718
	v_cvt_f32_i32_e32 v60, v60                                 // 000000003DF0: 7E780B3C
	v_cvt_f32_i32_e32 v61, v61                                 // 000000003DF4: 7E7A0B3D
	v_cvt_f32_i32_e32 v62, v62                                 // 000000003DF8: 7E7C0B3E
	v_cvt_f32_i32_e32 v63, v63                                 // 000000003DFC: 7E7E0B3F
	v_mul_f32_dpp v60, v27, v60 row_newbcast:0 row_mask:0xf bank_mask:0xf// 000000003E00: 0A7878FA FF01501B
	v_mul_f32_dpp v61, v27, v61 row_newbcast:1 row_mask:0xf bank_mask:0xf// 000000003E08: 0A7A7AFA FF01511B
	v_mul_f32_dpp v62, v27, v62 row_newbcast:2 row_mask:0xf bank_mask:0xf// 000000003E10: 0A7C7CFA FF01521B
	v_mul_f32_dpp v63, v27, v63 row_newbcast:3 row_mask:0xf bank_mask:0xf// 000000003E18: 0A7E7EFA FF01531B
	v_cvt_f32_i32_e32 v64, v64                                 // 000000003E20: 7E800B40
	v_cvt_f32_i32_e32 v65, v65                                 // 000000003E24: 7E820B41
	v_cvt_f32_i32_e32 v66, v66                                 // 000000003E28: 7E840B42
	v_cvt_f32_i32_e32 v67, v67                                 // 000000003E2C: 7E860B43
	v_mul_f32_dpp v64, v27, v64 row_newbcast:0 row_mask:0xf bank_mask:0xf// 000000003E30: 0A8080FA FF01501B
	v_mul_f32_dpp v65, v27, v65 row_newbcast:1 row_mask:0xf bank_mask:0xf// 000000003E38: 0A8282FA FF01511B
	v_mul_f32_dpp v66, v27, v66 row_newbcast:2 row_mask:0xf bank_mask:0xf// 000000003E40: 0A8484FA FF01521B
	v_mul_f32_dpp v67, v27, v67 row_newbcast:3 row_mask:0xf bank_mask:0xf// 000000003E48: 0A8686FA FF01531B
	v_cvt_f32_i32_e32 v68, v68                                 // 000000003E50: 7E880B44
	v_cvt_f32_i32_e32 v69, v69                                 // 000000003E54: 7E8A0B45
	v_cvt_f32_i32_e32 v70, v70                                 // 000000003E58: 7E8C0B46
	v_cvt_f32_i32_e32 v71, v71                                 // 000000003E5C: 7E8E0B47
	v_mul_f32_dpp v68, v27, v68 row_newbcast:4 row_mask:0xf bank_mask:0xf// 000000003E60: 0A8888FA FF01541B
	v_mul_f32_dpp v69, v27, v69 row_newbcast:5 row_mask:0xf bank_mask:0xf// 000000003E68: 0A8A8AFA FF01551B
	v_mul_f32_dpp v70, v27, v70 row_newbcast:6 row_mask:0xf bank_mask:0xf// 000000003E70: 0A8C8CFA FF01561B
	v_mul_f32_dpp v71, v27, v71 row_newbcast:7 row_mask:0xf bank_mask:0xf// 000000003E78: 0A8E8EFA FF01571B
	v_cvt_f32_i32_e32 v72, v72                                 // 000000003E80: 7E900B48
	v_cvt_f32_i32_e32 v73, v73                                 // 000000003E84: 7E920B49
	v_cvt_f32_i32_e32 v74, v74                                 // 000000003E88: 7E940B4A
	v_cvt_f32_i32_e32 v75, v75                                 // 000000003E8C: 7E960B4B
	v_mul_f32_dpp v72, v27, v72 row_newbcast:4 row_mask:0xf bank_mask:0xf// 000000003E90: 0A9090FA FF01541B
	v_mul_f32_dpp v73, v27, v73 row_newbcast:5 row_mask:0xf bank_mask:0xf// 000000003E98: 0A9292FA FF01551B
	v_mul_f32_dpp v74, v27, v74 row_newbcast:6 row_mask:0xf bank_mask:0xf// 000000003EA0: 0A9494FA FF01561B
	v_mul_f32_dpp v75, v27, v75 row_newbcast:7 row_mask:0xf bank_mask:0xf// 000000003EA8: 0A9696FA FF01571B
	v_mov_b32_e32 v4, v32                                      // 000000003EB0: 7E080320
	v_mov_b32_e32 v5, v4                                       // 000000003EB4: 7E0A0304
	v_pk_mul_f32 v[44:45], v[4:5], v[44:45]                    // 000000003EB8: D3B1402C 18025904
	v_pk_mul_f32 v[60:61], v[4:5], v[60:61]                    // 000000003EC0: D3B1403C 18027904
	v_pk_mul_f32 v[46:47], v[4:5], v[46:47]                    // 000000003EC8: D3B1402E 18025D04
	v_pk_mul_f32 v[62:63], v[4:5], v[62:63]                    // 000000003ED0: D3B1403E 18027D04
	v_pk_mul_f32 v[52:53], v[4:5], v[52:53]                    // 000000003ED8: D3B14034 18026904
	v_pk_mul_f32 v[68:69], v[4:5], v[68:69]                    // 000000003EE0: D3B14044 18028904
	v_pk_mul_f32 v[54:55], v[4:5], v[54:55]                    // 000000003EE8: D3B14036 18026D04
	v_pk_mul_f32 v[70:71], v[4:5], v[70:71]                    // 000000003EF0: D3B14046 18028D04
	v_mov_b32_e32 v4, v33                                      // 000000003EF8: 7E080321
	v_mov_b32_e32 v5, v4                                       // 000000003EFC: 7E0A0304
	v_pk_mul_f32 v[48:49], v[4:5], v[48:49]                    // 000000003F00: D3B14030 18026104
	v_pk_mul_f32 v[64:65], v[4:5], v[64:65]                    // 000000003F08: D3B14040 18028104
	v_pk_mul_f32 v[50:51], v[4:5], v[50:51]                    // 000000003F10: D3B14032 18026504
	v_pk_mul_f32 v[66:67], v[4:5], v[66:67]                    // 000000003F18: D3B14042 18028504
	v_pk_mul_f32 v[56:57], v[4:5], v[56:57]                    // 000000003F20: D3B14038 18027104
	v_pk_mul_f32 v[72:73], v[4:5], v[72:73]                    // 000000003F28: D3B14048 18029104
	v_pk_mul_f32 v[58:59], v[4:5], v[58:59]                    // 000000003F30: D3B1403A 18027504
	v_pk_mul_f32 v[74:75], v[4:5], v[74:75]                    // 000000003F38: D3B1404A 18029504
	s_cmp_eq_u32 s88, 0                                        // 000000003F40: BF068058
	s_cbranch_scc0 label_07C3                                  // 000000003F44: BF840271
	s_cmp_eq_u32 s89, 0                                        // 000000003F48: BF068059
	s_cbranch_scc1 label_05F9                                  // 000000003F4C: BF8500A5
	v_mov_b32_e32 v8, v1                                       // 000000003F50: 7E100301
	v_mov_b32_e32 v9, v1                                       // 000000003F54: 7E120301
	s_mov_b32 s60, s6                                          // 000000003F58: BEBC0006
	s_mov_b32 s61, s6                                          // 000000003F5C: BEBD0006
	v_pk_mul_f32 v[4:5], v[44:45], v[44:45]                    // 000000003F60: D3B14004 1802592C
	v_pk_mul_f32 v[6:7], v[46:47], v[46:47]                    // 000000003F68: D3B14006 18025D2E
	v_pk_fma_f32 v[4:5], v[4:5], s[78:79], v[8:9]              // 000000003F70: D3B04004 1C209D04
	v_pk_fma_f32 v[6:7], v[6:7], s[78:79], v[8:9]              // 000000003F78: D3B04006 1C209D06
	v_pk_mul_f32 v[4:5], v[4:5], v[44:45]                      // 000000003F80: D3B14004 18025904
	v_pk_mul_f32 v[6:7], v[6:7], v[46:47]                      // 000000003F88: D3B14006 18025D06
	v_pk_mul_f32 v[4:5], v[4:5], s[60:61]                      // 000000003F90: D3B14004 18007904
	v_pk_mul_f32 v[6:7], v[6:7], s[60:61]                      // 000000003F98: D3B14006 18007906
	v_exp_f32_e32 v4, v4                                       // 000000003FA0: 7E084104
	v_exp_f32_e32 v5, v5                                       // 000000003FA4: 7E0A4105
	v_exp_f32_e32 v6, v6                                       // 000000003FA8: 7E0C4106
	v_exp_f32_e32 v7, v7                                       // 000000003FAC: 7E0E4107
	v_add_f32_e64 v4, v4, 1.0                                  // 000000003FB0: D1010004 0001E504
	v_add_f32_e64 v5, v5, 1.0                                  // 000000003FB8: D1010005 0001E505
	v_add_f32_e64 v6, v6, 1.0                                  // 000000003FC0: D1010006 0001E506
	v_add_f32_e64 v7, v7, 1.0                                  // 000000003FC8: D1010007 0001E507
	v_rcp_f32_e32 v4, v4                                       // 000000003FD0: 7E084504
	v_rcp_f32_e32 v5, v5                                       // 000000003FD4: 7E0A4505
	v_rcp_f32_e32 v6, v6                                       // 000000003FD8: 7E0C4506
	v_rcp_f32_e32 v7, v7                                       // 000000003FDC: 7E0E4507
	v_mul_f32_e32 v44, v44, v4                                 // 000000003FE0: 0A58092C
	v_mul_f32_e32 v45, v45, v5                                 // 000000003FE4: 0A5A0B2D
	v_mul_f32_e32 v46, v46, v6                                 // 000000003FE8: 0A5C0D2E
	v_mul_f32_e32 v47, v47, v7                                 // 000000003FEC: 0A5E0F2F
	v_mul_f32_e32 v44, v44, v60                                // 000000003FF0: 0A58792C
	v_mul_f32_e32 v45, v45, v61                                // 000000003FF4: 0A5A7B2D
	v_mul_f32_e32 v46, v46, v62                                // 000000003FF8: 0A5C7D2E
	v_mul_f32_e32 v47, v47, v63                                // 000000003FFC: 0A5E7F2F
	v_pk_mul_f32 v[4:5], v[48:49], v[48:49]                    // 000000004000: D3B14004 18026130
	v_pk_mul_f32 v[6:7], v[50:51], v[50:51]                    // 000000004008: D3B14006 18026532
	v_pk_fma_f32 v[4:5], v[4:5], s[78:79], v[8:9]              // 000000004010: D3B04004 1C209D04
	v_pk_fma_f32 v[6:7], v[6:7], s[78:79], v[8:9]              // 000000004018: D3B04006 1C209D06
	v_pk_mul_f32 v[4:5], v[4:5], v[48:49]                      // 000000004020: D3B14004 18026104
	v_pk_mul_f32 v[6:7], v[6:7], v[50:51]                      // 000000004028: D3B14006 18026506
	v_pk_mul_f32 v[4:5], v[4:5], s[60:61]                      // 000000004030: D3B14004 18007904
	v_pk_mul_f32 v[6:7], v[6:7], s[60:61]                      // 000000004038: D3B14006 18007906
	v_exp_f32_e32 v4, v4                                       // 000000004040: 7E084104
	v_exp_f32_e32 v5, v5                                       // 000000004044: 7E0A4105
	v_exp_f32_e32 v6, v6                                       // 000000004048: 7E0C4106
	v_exp_f32_e32 v7, v7                                       // 00000000404C: 7E0E4107
	v_add_f32_e64 v4, v4, 1.0                                  // 000000004050: D1010004 0001E504
	v_add_f32_e64 v5, v5, 1.0                                  // 000000004058: D1010005 0001E505
	v_add_f32_e64 v6, v6, 1.0                                  // 000000004060: D1010006 0001E506
	v_add_f32_e64 v7, v7, 1.0                                  // 000000004068: D1010007 0001E507
	v_rcp_f32_e32 v4, v4                                       // 000000004070: 7E084504
	v_rcp_f32_e32 v5, v5                                       // 000000004074: 7E0A4505
	v_rcp_f32_e32 v6, v6                                       // 000000004078: 7E0C4506
	v_rcp_f32_e32 v7, v7                                       // 00000000407C: 7E0E4507
	v_mul_f32_e32 v48, v48, v4                                 // 000000004080: 0A600930
	v_mul_f32_e32 v49, v49, v5                                 // 000000004084: 0A620B31
	v_mul_f32_e32 v50, v50, v6                                 // 000000004088: 0A640D32
	v_mul_f32_e32 v51, v51, v7                                 // 00000000408C: 0A660F33
	v_mul_f32_e32 v48, v48, v64                                // 000000004090: 0A608130
	v_mul_f32_e32 v49, v49, v65                                // 000000004094: 0A628331
	v_mul_f32_e32 v50, v50, v66                                // 000000004098: 0A648532
	v_mul_f32_e32 v51, v51, v67                                // 00000000409C: 0A668733
	v_pk_mul_f32 v[4:5], v[52:53], v[52:53]                    // 0000000040A0: D3B14004 18026934
	v_pk_mul_f32 v[6:7], v[54:55], v[54:55]                    // 0000000040A8: D3B14006 18026D36
	v_pk_fma_f32 v[4:5], v[4:5], s[78:79], v[8:9]              // 0000000040B0: D3B04004 1C209D04
	v_pk_fma_f32 v[6:7], v[6:7], s[78:79], v[8:9]              // 0000000040B8: D3B04006 1C209D06
	v_pk_mul_f32 v[4:5], v[4:5], v[52:53]                      // 0000000040C0: D3B14004 18026904
	v_pk_mul_f32 v[6:7], v[6:7], v[54:55]                      // 0000000040C8: D3B14006 18026D06
	v_pk_mul_f32 v[4:5], v[4:5], s[60:61]                      // 0000000040D0: D3B14004 18007904
	v_pk_mul_f32 v[6:7], v[6:7], s[60:61]                      // 0000000040D8: D3B14006 18007906
	v_exp_f32_e32 v4, v4                                       // 0000000040E0: 7E084104
	v_exp_f32_e32 v5, v5                                       // 0000000040E4: 7E0A4105
	v_exp_f32_e32 v6, v6                                       // 0000000040E8: 7E0C4106
	v_exp_f32_e32 v7, v7                                       // 0000000040EC: 7E0E4107
	v_add_f32_e64 v4, v4, 1.0                                  // 0000000040F0: D1010004 0001E504
	v_add_f32_e64 v5, v5, 1.0                                  // 0000000040F8: D1010005 0001E505
	v_add_f32_e64 v6, v6, 1.0                                  // 000000004100: D1010006 0001E506
	v_add_f32_e64 v7, v7, 1.0                                  // 000000004108: D1010007 0001E507
	v_rcp_f32_e32 v4, v4                                       // 000000004110: 7E084504
	v_rcp_f32_e32 v5, v5                                       // 000000004114: 7E0A4505
	v_rcp_f32_e32 v6, v6                                       // 000000004118: 7E0C4506
	v_rcp_f32_e32 v7, v7                                       // 00000000411C: 7E0E4507
	v_mul_f32_e32 v52, v52, v4                                 // 000000004120: 0A680934
	v_mul_f32_e32 v53, v53, v5                                 // 000000004124: 0A6A0B35
	v_mul_f32_e32 v54, v54, v6                                 // 000000004128: 0A6C0D36
	v_mul_f32_e32 v55, v55, v7                                 // 00000000412C: 0A6E0F37
	v_mul_f32_e32 v52, v52, v68                                // 000000004130: 0A688934
	v_mul_f32_e32 v53, v53, v69                                // 000000004134: 0A6A8B35
	v_mul_f32_e32 v54, v54, v70                                // 000000004138: 0A6C8D36
	v_mul_f32_e32 v55, v55, v71                                // 00000000413C: 0A6E8F37
	v_pk_mul_f32 v[4:5], v[56:57], v[56:57]                    // 000000004140: D3B14004 18027138
	v_pk_mul_f32 v[6:7], v[58:59], v[58:59]                    // 000000004148: D3B14006 1802753A
	v_pk_fma_f32 v[4:5], v[4:5], s[78:79], v[8:9]              // 000000004150: D3B04004 1C209D04
	v_pk_fma_f32 v[6:7], v[6:7], s[78:79], v[8:9]              // 000000004158: D3B04006 1C209D06
	v_pk_mul_f32 v[4:5], v[4:5], v[56:57]                      // 000000004160: D3B14004 18027104
	v_pk_mul_f32 v[6:7], v[6:7], v[58:59]                      // 000000004168: D3B14006 18027506
	v_pk_mul_f32 v[4:5], v[4:5], s[60:61]                      // 000000004170: D3B14004 18007904
	v_pk_mul_f32 v[6:7], v[6:7], s[60:61]                      // 000000004178: D3B14006 18007906
	v_exp_f32_e32 v4, v4                                       // 000000004180: 7E084104
	v_exp_f32_e32 v5, v5                                       // 000000004184: 7E0A4105
	v_exp_f32_e32 v6, v6                                       // 000000004188: 7E0C4106
	v_exp_f32_e32 v7, v7                                       // 00000000418C: 7E0E4107
	v_add_f32_e64 v4, v4, 1.0                                  // 000000004190: D1010004 0001E504
	v_add_f32_e64 v5, v5, 1.0                                  // 000000004198: D1010005 0001E505
	v_add_f32_e64 v6, v6, 1.0                                  // 0000000041A0: D1010006 0001E506
	v_add_f32_e64 v7, v7, 1.0                                  // 0000000041A8: D1010007 0001E507
	v_rcp_f32_e32 v4, v4                                       // 0000000041B0: 7E084504
	v_rcp_f32_e32 v5, v5                                       // 0000000041B4: 7E0A4505
	v_rcp_f32_e32 v6, v6                                       // 0000000041B8: 7E0C4506
	v_rcp_f32_e32 v7, v7                                       // 0000000041BC: 7E0E4507
	v_mul_f32_e32 v56, v56, v4                                 // 0000000041C0: 0A700938
	v_mul_f32_e32 v57, v57, v5                                 // 0000000041C4: 0A720B39
	v_mul_f32_e32 v58, v58, v6                                 // 0000000041C8: 0A740D3A
	v_mul_f32_e32 v59, v59, v7                                 // 0000000041CC: 0A760F3B
	v_mul_f32_e32 v56, v56, v72                                // 0000000041D0: 0A709138
	v_mul_f32_e32 v57, v57, v73                                // 0000000041D4: 0A729339
	v_mul_f32_e32 v58, v58, v74                                // 0000000041D8: 0A74953A
	v_mul_f32_e32 v59, v59, v75                                // 0000000041DC: 0A76973B
	s_branch label_0679                                        // 0000000041E0: BF820080

00000000000041e4 <label_05F9>:
	v_mul_f32_e64 v4, -v44, s6                                 // 0000000041E4: D1050004 20000D2C
	v_mul_f32_e64 v5, -v45, s6                                 // 0000000041EC: D1050005 20000D2D
	v_mul_f32_e64 v6, -v46, s6                                 // 0000000041F4: D1050006 20000D2E
	v_mul_f32_e64 v7, -v47, s6                                 // 0000000041FC: D1050007 20000D2F
	v_exp_f32_e32 v4, v4                                       // 000000004204: 7E084104
	v_exp_f32_e32 v5, v5                                       // 000000004208: 7E0A4105
	v_exp_f32_e32 v6, v6                                       // 00000000420C: 7E0C4106
	v_exp_f32_e32 v7, v7                                       // 000000004210: 7E0E4107
	v_add_f32_e64 v4, v4, 1.0                                  // 000000004214: D1010004 0001E504
	v_add_f32_e64 v5, v5, 1.0                                  // 00000000421C: D1010005 0001E505
	v_add_f32_e64 v6, v6, 1.0                                  // 000000004224: D1010006 0001E506
	v_add_f32_e64 v7, v7, 1.0                                  // 00000000422C: D1010007 0001E507
	v_rcp_f32_e32 v4, v4                                       // 000000004234: 7E084504
	v_rcp_f32_e32 v5, v5                                       // 000000004238: 7E0A4505
	v_rcp_f32_e32 v6, v6                                       // 00000000423C: 7E0C4506
	v_rcp_f32_e32 v7, v7                                       // 000000004240: 7E0E4507
	v_mul_f32_e32 v44, v44, v4                                 // 000000004244: 0A58092C
	v_mul_f32_e32 v45, v45, v5                                 // 000000004248: 0A5A0B2D
	v_mul_f32_e32 v46, v46, v6                                 // 00000000424C: 0A5C0D2E
	v_mul_f32_e32 v47, v47, v7                                 // 000000004250: 0A5E0F2F
	v_mul_f32_e32 v44, v44, v60                                // 000000004254: 0A58792C
	v_mul_f32_e32 v45, v45, v61                                // 000000004258: 0A5A7B2D
	v_mul_f32_e32 v46, v46, v62                                // 00000000425C: 0A5C7D2E
	v_mul_f32_e32 v47, v47, v63                                // 000000004260: 0A5E7F2F
	v_mul_f32_e64 v4, -v48, s6                                 // 000000004264: D1050004 20000D30
	v_mul_f32_e64 v5, -v49, s6                                 // 00000000426C: D1050005 20000D31
	v_mul_f32_e64 v6, -v50, s6                                 // 000000004274: D1050006 20000D32
	v_mul_f32_e64 v7, -v51, s6                                 // 00000000427C: D1050007 20000D33
	v_exp_f32_e32 v4, v4                                       // 000000004284: 7E084104
	v_exp_f32_e32 v5, v5                                       // 000000004288: 7E0A4105
	v_exp_f32_e32 v6, v6                                       // 00000000428C: 7E0C4106
	v_exp_f32_e32 v7, v7                                       // 000000004290: 7E0E4107
	v_add_f32_e64 v4, v4, 1.0                                  // 000000004294: D1010004 0001E504
	v_add_f32_e64 v5, v5, 1.0                                  // 00000000429C: D1010005 0001E505
	v_add_f32_e64 v6, v6, 1.0                                  // 0000000042A4: D1010006 0001E506
	v_add_f32_e64 v7, v7, 1.0                                  // 0000000042AC: D1010007 0001E507
	v_rcp_f32_e32 v4, v4                                       // 0000000042B4: 7E084504
	v_rcp_f32_e32 v5, v5                                       // 0000000042B8: 7E0A4505
	v_rcp_f32_e32 v6, v6                                       // 0000000042BC: 7E0C4506
	v_rcp_f32_e32 v7, v7                                       // 0000000042C0: 7E0E4507
	v_mul_f32_e32 v48, v48, v4                                 // 0000000042C4: 0A600930
	v_mul_f32_e32 v49, v49, v5                                 // 0000000042C8: 0A620B31
	v_mul_f32_e32 v50, v50, v6                                 // 0000000042CC: 0A640D32
	v_mul_f32_e32 v51, v51, v7                                 // 0000000042D0: 0A660F33
	v_mul_f32_e32 v48, v48, v64                                // 0000000042D4: 0A608130
	v_mul_f32_e32 v49, v49, v65                                // 0000000042D8: 0A628331
	v_mul_f32_e32 v50, v50, v66                                // 0000000042DC: 0A648532
	v_mul_f32_e32 v51, v51, v67                                // 0000000042E0: 0A668733
	v_mul_f32_e64 v4, -v52, s6                                 // 0000000042E4: D1050004 20000D34
	v_mul_f32_e64 v5, -v53, s6                                 // 0000000042EC: D1050005 20000D35
	v_mul_f32_e64 v6, -v54, s6                                 // 0000000042F4: D1050006 20000D36
	v_mul_f32_e64 v7, -v55, s6                                 // 0000000042FC: D1050007 20000D37
	v_exp_f32_e32 v4, v4                                       // 000000004304: 7E084104
	v_exp_f32_e32 v5, v5                                       // 000000004308: 7E0A4105
	v_exp_f32_e32 v6, v6                                       // 00000000430C: 7E0C4106
	v_exp_f32_e32 v7, v7                                       // 000000004310: 7E0E4107
	v_add_f32_e64 v4, v4, 1.0                                  // 000000004314: D1010004 0001E504
	v_add_f32_e64 v5, v5, 1.0                                  // 00000000431C: D1010005 0001E505
	v_add_f32_e64 v6, v6, 1.0                                  // 000000004324: D1010006 0001E506
	v_add_f32_e64 v7, v7, 1.0                                  // 00000000432C: D1010007 0001E507
	v_rcp_f32_e32 v4, v4                                       // 000000004334: 7E084504
	v_rcp_f32_e32 v5, v5                                       // 000000004338: 7E0A4505
	v_rcp_f32_e32 v6, v6                                       // 00000000433C: 7E0C4506
	v_rcp_f32_e32 v7, v7                                       // 000000004340: 7E0E4507
	v_mul_f32_e32 v52, v52, v4                                 // 000000004344: 0A680934
	v_mul_f32_e32 v53, v53, v5                                 // 000000004348: 0A6A0B35
	v_mul_f32_e32 v54, v54, v6                                 // 00000000434C: 0A6C0D36
	v_mul_f32_e32 v55, v55, v7                                 // 000000004350: 0A6E0F37
	v_mul_f32_e32 v52, v52, v68                                // 000000004354: 0A688934
	v_mul_f32_e32 v53, v53, v69                                // 000000004358: 0A6A8B35
	v_mul_f32_e32 v54, v54, v70                                // 00000000435C: 0A6C8D36
	v_mul_f32_e32 v55, v55, v71                                // 000000004360: 0A6E8F37
	v_mul_f32_e64 v4, -v56, s6                                 // 000000004364: D1050004 20000D38
	v_mul_f32_e64 v5, -v57, s6                                 // 00000000436C: D1050005 20000D39
	v_mul_f32_e64 v6, -v58, s6                                 // 000000004374: D1050006 20000D3A
	v_mul_f32_e64 v7, -v59, s6                                 // 00000000437C: D1050007 20000D3B
	v_exp_f32_e32 v4, v4                                       // 000000004384: 7E084104
	v_exp_f32_e32 v5, v5                                       // 000000004388: 7E0A4105
	v_exp_f32_e32 v6, v6                                       // 00000000438C: 7E0C4106
	v_exp_f32_e32 v7, v7                                       // 000000004390: 7E0E4107
	v_add_f32_e64 v4, v4, 1.0                                  // 000000004394: D1010004 0001E504
	v_add_f32_e64 v5, v5, 1.0                                  // 00000000439C: D1010005 0001E505
	v_add_f32_e64 v6, v6, 1.0                                  // 0000000043A4: D1010006 0001E506
	v_add_f32_e64 v7, v7, 1.0                                  // 0000000043AC: D1010007 0001E507
	v_rcp_f32_e32 v4, v4                                       // 0000000043B4: 7E084504
	v_rcp_f32_e32 v5, v5                                       // 0000000043B8: 7E0A4505
	v_rcp_f32_e32 v6, v6                                       // 0000000043BC: 7E0C4506
	v_rcp_f32_e32 v7, v7                                       // 0000000043C0: 7E0E4507
	v_mul_f32_e32 v56, v56, v4                                 // 0000000043C4: 0A700938
	v_mul_f32_e32 v57, v57, v5                                 // 0000000043C8: 0A720B39
	v_mul_f32_e32 v58, v58, v6                                 // 0000000043CC: 0A740D3A
	v_mul_f32_e32 v59, v59, v7                                 // 0000000043D0: 0A760F3B
	v_mul_f32_e32 v56, v56, v72                                // 0000000043D4: 0A709138
	v_mul_f32_e32 v57, v57, v73                                // 0000000043D8: 0A729339
	v_mul_f32_e32 v58, v58, v74                                // 0000000043DC: 0A74953A
	v_mul_f32_e32 v59, v59, v75                                // 0000000043E0: 0A76973B

00000000000043e4 <label_0679>:
	v_cmp_u_f32_e64 s[46:47], v44, v44                         // 0000000043E4: D048002E 0002592C
	v_add3_u32 v16, v44, v19, 1                                // 0000000043EC: D1FF0010 0206272C
	v_cndmask_b32_e64 v4, v16, v18, s[46:47]                   // 0000000043F4: D1000004 00BA2510
	v_cmp_u_f32_e64 s[46:47], v45, v45                         // 0000000043FC: D048002E 00025B2D
	v_add3_u32 v16, v45, v19, 1                                // 000000004404: D1FF0010 0206272D
	v_cndmask_b32_e64 v5, v16, v18, s[46:47]                   // 00000000440C: D1000005 00BA2510
	v_perm_b32 v44, v5, v4, s52                                // 000000004414: D1ED002C 00D20905
	v_cmp_u_f32_e64 s[46:47], v46, v46                         // 00000000441C: D048002E 00025D2E
	v_add3_u32 v16, v46, v19, 1                                // 000000004424: D1FF0010 0206272E
	v_cndmask_b32_e64 v4, v16, v18, s[46:47]                   // 00000000442C: D1000004 00BA2510
	v_cmp_u_f32_e64 s[46:47], v47, v47                         // 000000004434: D048002E 00025F2F
	v_add3_u32 v16, v47, v19, 1                                // 00000000443C: D1FF0010 0206272F
	v_cndmask_b32_e64 v5, v16, v18, s[46:47]                   // 000000004444: D1000005 00BA2510
	v_perm_b32 v45, v5, v4, s52                                // 00000000444C: D1ED002D 00D20905
	v_cmp_u_f32_e64 s[46:47], v48, v48                         // 000000004454: D048002E 00026130
	v_add3_u32 v16, v48, v19, 1                                // 00000000445C: D1FF0010 02062730
	v_cndmask_b32_e64 v4, v16, v18, s[46:47]                   // 000000004464: D1000004 00BA2510
	v_cmp_u_f32_e64 s[46:47], v49, v49                         // 00000000446C: D048002E 00026331
	v_add3_u32 v16, v49, v19, 1                                // 000000004474: D1FF0010 02062731
	v_cndmask_b32_e64 v5, v16, v18, s[46:47]                   // 00000000447C: D1000005 00BA2510
	v_perm_b32 v46, v5, v4, s52                                // 000000004484: D1ED002E 00D20905
	v_cmp_u_f32_e64 s[46:47], v50, v50                         // 00000000448C: D048002E 00026532
	v_add3_u32 v16, v50, v19, 1                                // 000000004494: D1FF0010 02062732
	v_cndmask_b32_e64 v4, v16, v18, s[46:47]                   // 00000000449C: D1000004 00BA2510
	v_cmp_u_f32_e64 s[46:47], v51, v51                         // 0000000044A4: D048002E 00026733
	v_add3_u32 v16, v51, v19, 1                                // 0000000044AC: D1FF0010 02062733
	v_cndmask_b32_e64 v5, v16, v18, s[46:47]                   // 0000000044B4: D1000005 00BA2510
	v_perm_b32 v47, v5, v4, s52                                // 0000000044BC: D1ED002F 00D20905
	v_cmp_u_f32_e64 s[46:47], v52, v52                         // 0000000044C4: D048002E 00026934
	v_add3_u32 v16, v52, v19, 1                                // 0000000044CC: D1FF0010 02062734
	v_cndmask_b32_e64 v4, v16, v18, s[46:47]                   // 0000000044D4: D1000004 00BA2510
	v_cmp_u_f32_e64 s[46:47], v53, v53                         // 0000000044DC: D048002E 00026B35
	v_add3_u32 v16, v53, v19, 1                                // 0000000044E4: D1FF0010 02062735
	v_cndmask_b32_e64 v5, v16, v18, s[46:47]                   // 0000000044EC: D1000005 00BA2510
	v_perm_b32 v48, v5, v4, s52                                // 0000000044F4: D1ED0030 00D20905
	v_cmp_u_f32_e64 s[46:47], v54, v54                         // 0000000044FC: D048002E 00026D36
	v_add3_u32 v16, v54, v19, 1                                // 000000004504: D1FF0010 02062736
	v_cndmask_b32_e64 v4, v16, v18, s[46:47]                   // 00000000450C: D1000004 00BA2510
	v_cmp_u_f32_e64 s[46:47], v55, v55                         // 000000004514: D048002E 00026F37
	v_add3_u32 v16, v55, v19, 1                                // 00000000451C: D1FF0010 02062737
	v_cndmask_b32_e64 v5, v16, v18, s[46:47]                   // 000000004524: D1000005 00BA2510
	v_perm_b32 v49, v5, v4, s52                                // 00000000452C: D1ED0031 00D20905
	v_cmp_u_f32_e64 s[46:47], v56, v56                         // 000000004534: D048002E 00027138
	v_add3_u32 v16, v56, v19, 1                                // 00000000453C: D1FF0010 02062738
	v_cndmask_b32_e64 v4, v16, v18, s[46:47]                   // 000000004544: D1000004 00BA2510
	v_cmp_u_f32_e64 s[46:47], v57, v57                         // 00000000454C: D048002E 00027339
	v_add3_u32 v16, v57, v19, 1                                // 000000004554: D1FF0010 02062739
	v_cndmask_b32_e64 v5, v16, v18, s[46:47]                   // 00000000455C: D1000005 00BA2510
	v_perm_b32 v50, v5, v4, s52                                // 000000004564: D1ED0032 00D20905
	v_cmp_u_f32_e64 s[46:47], v58, v58                         // 00000000456C: D048002E 0002753A
	v_add3_u32 v16, v58, v19, 1                                // 000000004574: D1FF0010 0206273A
	v_cndmask_b32_e64 v4, v16, v18, s[46:47]                   // 00000000457C: D1000004 00BA2510
	v_cmp_u_f32_e64 s[46:47], v59, v59                         // 000000004584: D048002E 0002773B
	v_add3_u32 v16, v59, v19, 1                                // 00000000458C: D1FF0010 0206273B
	v_cndmask_b32_e64 v5, v16, v18, s[46:47]                   // 000000004594: D1000005 00BA2510
	v_perm_b32 v51, v5, v4, s52                                // 00000000459C: D1ED0033 00D20905
	ds_write_b64 v20, v[44:45]                                 // 0000000045A4: D89A0000 00002C14
	ds_write_b64 v20, v[46:47] offset:4352                     // 0000000045AC: D89A1100 00002E14
	ds_write_b64 v20, v[48:49] offset:2176                     // 0000000045B4: D89A0880 00003014
	ds_write_b64 v20, v[50:51] offset:6528                     // 0000000045BC: D89A1980 00003214
	v_lshrrev_b32_e32 v4, 5, v0                                // 0000000045C4: 20080085
	v_xor_b32_e32 v5, 1, v4                                    // 0000000045C8: 2A0A0881
	s_mul_i32 s60, s65, 2                                      // 0000000045CC: 923C8241
	s_cmp_eq_u32 s88, 0                                        // 0000000045D0: BF068058
	s_cselect_b32 s61, 1, 4                                    // 0000000045D4: 853D8481
	s_mul_i32 s60, s61, s60                                    // 0000000045D8: 923C3C3D
	v_readlane_b32 s82, v3, 0                                  // 0000000045DC: D2890052 00010103
	s_lshr_b32 s61, s82, 24                                    // 0000000045E4: 8F3D9852
	s_and_b32 s82, s82, 0xffffff                               // 0000000045E8: 8652FF52 00FFFFFF
	s_mul_i32 s82, s82, s71                                    // 0000000045F0: 92524752
	s_mul_i32 s61, s60, s61                                    // 0000000045F4: 923D3D3C
	s_add_u32 s82, s82, s61                                    // 0000000045F8: 80523D52
	v_mul_lo_u32 v6, v5, s82                                   // 0000000045FC: D2850006 0000A505
	v_readlane_b32 s82, v3, 1                                  // 000000004604: D2890052 00010303
	s_lshr_b32 s61, s82, 24                                    // 00000000460C: 8F3D9852
	s_and_b32 s82, s82, 0xffffff                               // 000000004610: 8652FF52 00FFFFFF
	s_mul_i32 s82, s82, s71                                    // 000000004618: 92524752
	s_mul_i32 s61, s60, s61                                    // 00000000461C: 923D3D3C
	s_add_u32 s82, s82, s61                                    // 000000004620: 80523D52
	v_mul_lo_u32 v7, v4, s82                                   // 000000004624: D2850007 0000A504
	v_add_u32_e32 v38, v6, v7                                  // 00000000462C: 684C0F06
	v_readlane_b32 s82, v3, 2                                  // 000000004630: D2890052 00010503
	s_lshr_b32 s61, s82, 24                                    // 000000004638: 8F3D9852
	s_and_b32 s82, s82, 0xffffff                               // 00000000463C: 8652FF52 00FFFFFF
	s_mul_i32 s82, s82, s71                                    // 000000004644: 92524752
	s_mul_i32 s61, s60, s61                                    // 000000004648: 923D3D3C
	s_add_u32 s82, s82, s61                                    // 00000000464C: 80523D52
	v_mul_lo_u32 v6, v5, s82                                   // 000000004650: D2850006 0000A505
	v_readlane_b32 s82, v3, 3                                  // 000000004658: D2890052 00010703
	s_lshr_b32 s61, s82, 24                                    // 000000004660: 8F3D9852
	s_and_b32 s82, s82, 0xffffff                               // 000000004664: 8652FF52 00FFFFFF
	s_mul_i32 s82, s82, s71                                    // 00000000466C: 92524752
	s_mul_i32 s61, s60, s61                                    // 000000004670: 923D3D3C
	s_add_u32 s82, s82, s61                                    // 000000004674: 80523D52
	v_mul_lo_u32 v7, v4, s82                                   // 000000004678: D2850007 0000A504
	v_add_u32_e32 v39, v6, v7                                  // 000000004680: 684E0F06
	v_readlane_b32 s82, v3, 4                                  // 000000004684: D2890052 00010903
	s_lshr_b32 s61, s82, 24                                    // 00000000468C: 8F3D9852
	s_and_b32 s82, s82, 0xffffff                               // 000000004690: 8652FF52 00FFFFFF
	s_mul_i32 s82, s82, s71                                    // 000000004698: 92524752
	s_mul_i32 s61, s60, s61                                    // 00000000469C: 923D3D3C
	s_add_u32 s82, s82, s61                                    // 0000000046A0: 80523D52
	v_mul_lo_u32 v6, v5, s82                                   // 0000000046A4: D2850006 0000A505
	v_readlane_b32 s82, v3, 5                                  // 0000000046AC: D2890052 00010B03
	s_lshr_b32 s61, s82, 24                                    // 0000000046B4: 8F3D9852
	s_and_b32 s82, s82, 0xffffff                               // 0000000046B8: 8652FF52 00FFFFFF
	s_mul_i32 s82, s82, s71                                    // 0000000046C0: 92524752
	s_mul_i32 s61, s60, s61                                    // 0000000046C4: 923D3D3C
	s_add_u32 s82, s82, s61                                    // 0000000046C8: 80523D52
	v_mul_lo_u32 v7, v4, s82                                   // 0000000046CC: D2850007 0000A504
	v_add_u32_e32 v40, v6, v7                                  // 0000000046D4: 68500F06
	v_readlane_b32 s82, v3, 6                                  // 0000000046D8: D2890052 00010D03
	s_lshr_b32 s61, s82, 24                                    // 0000000046E0: 8F3D9852
	s_and_b32 s82, s82, 0xffffff                               // 0000000046E4: 8652FF52 00FFFFFF
	s_mul_i32 s82, s82, s71                                    // 0000000046EC: 92524752
	s_mul_i32 s61, s60, s61                                    // 0000000046F0: 923D3D3C
	s_add_u32 s82, s82, s61                                    // 0000000046F4: 80523D52
	v_mul_lo_u32 v6, v5, s82                                   // 0000000046F8: D2850006 0000A505
	v_readlane_b32 s82, v3, 7                                  // 000000004700: D2890052 00010F03
	s_lshr_b32 s61, s82, 24                                    // 000000004708: 8F3D9852
	s_and_b32 s82, s82, 0xffffff                               // 00000000470C: 8652FF52 00FFFFFF
	s_mul_i32 s82, s82, s71                                    // 000000004714: 92524752
	s_mul_i32 s61, s60, s61                                    // 000000004718: 923D3D3C
	s_add_u32 s82, s82, s61                                    // 00000000471C: 80523D52
	v_mul_lo_u32 v7, v4, s82                                   // 000000004720: D2850007 0000A504
	v_add_u32_e32 v41, v6, v7                                  // 000000004728: 68520F06
	v_and_b32_e32 v4, 31, v0                                   // 00000000472C: 2608009F
	v_lshrrev_b32_e32 v4, 1, v4                                // 000000004730: 20080881
	s_cmp_eq_u32 s88, 0                                        // 000000004734: BF068058
	s_cselect_b32 s61, 2, 4                                    // 000000004738: 853D8482
	v_mul_lo_u32 v4, v4, s61                                   // 00000000473C: D2850004 00007B04
	v_and_b32_e64 v5, v0, 1                                    // 000000004744: D1130005 00010300
	v_add_u32_e32 v4, v4, v5                                   // 00000000474C: 68080B04
	v_lshlrev_b32_e32 v4, 2, v4                                // 000000004750: 24080882
	v_add_u32_e32 v38, v38, v4                                 // 000000004754: 684C0926
	v_add_u32_e32 v39, v39, v4                                 // 000000004758: 684E0927
	v_add_u32_e32 v40, v40, v4                                 // 00000000475C: 68500928
	v_add_u32_e32 v41, v41, v4                                 // 000000004760: 68520929
	s_waitcnt lgkmcnt(0)                                       // 000000004764: BF8CC07F
	s_barrier                                                  // 000000004768: BF8A0000
	ds_read_b32 v44, v21                                       // 00000000476C: D86C0000 2C000015
	ds_read_b32 v45, v21 offset:64                             // 000000004774: D86C0040 2D000015
	ds_read_b32 v46, v21 offset:2176                           // 00000000477C: D86C0880 2E000015
	ds_read_b32 v47, v21 offset:2240                           // 000000004784: D86C08C0 2F000015
	ds_read_b32 v48, v21 offset:4352                           // 00000000478C: D86C1100 30000015
	ds_read_b32 v49, v21 offset:4416                           // 000000004794: D86C1140 31000015
	ds_read_b32 v50, v21 offset:6528                           // 00000000479C: D86C1980 32000015
	ds_read_b32 v51, v21 offset:6592                           // 0000000047A4: D86C19C0 33000015
	s_waitcnt lgkmcnt(0)                                       // 0000000047AC: BF8CC07F
	s_mov_b32 s36, -1                                          // 0000000047B0: BEA400C1
	s_mov_b32 s37, -1                                          // 0000000047B4: BEA500C1
	v_mov_b32_e32 v7, 0                                        // 0000000047B8: 7E0E0280
	s_or_b32 s9, s9, 0x40000                                   // 0000000047BC: 8709FF09 00040000
	s_mov_b64 exec, s[36:37]                                   // 0000000047C4: BEFE0124
	v_mov_b32_e32 v6, v38                                      // 0000000047C8: 7E0C0326
	s_mov_b64 s[60:61], 0                                      // 0000000047CC: BEBC0180
	v_readlane_b32 s82, v3, 0                                  // 0000000047D0: D2890052 00010103
	s_and_b32 s82, s82, 0xffffff                               // 0000000047D8: 8652FF52 00FFFFFF
	s_cmp_lt_u32 s82, s66                                      // 0000000047E0: BF0A4252
	s_cselect_b32 s20, s36, s60                                // 0000000047E4: 85143C24
	v_readlane_b32 s82, v3, 1                                  // 0000000047E8: D2890052 00010303
	s_and_b32 s82, s82, 0xffffff                               // 0000000047F0: 8652FF52 00FFFFFF
	s_cmp_lt_u32 s82, s66                                      // 0000000047F8: BF0A4252
	s_cselect_b32 s21, s36, s60                                // 0000000047FC: 85153C24
	s_mov_b64 exec, s[20:21]                                   // 000000004800: BEFE0114
	buffer_store_dword v44, v6, s[8:11], 0 offen               // 000000004804: E0701000 80022C06
	buffer_store_dword v46, v6, s[8:11], 0 offen offset:128    // 00000000480C: E0701080 80022E06
	s_mov_b64 exec, s[36:37]                                   // 000000004814: BEFE0124
	v_mov_b32_e32 v6, v39                                      // 000000004818: 7E0C0327
	s_mov_b64 s[60:61], 0                                      // 00000000481C: BEBC0180
	v_readlane_b32 s82, v3, 2                                  // 000000004820: D2890052 00010503
	s_and_b32 s82, s82, 0xffffff                               // 000000004828: 8652FF52 00FFFFFF
	s_cmp_lt_u32 s82, s66                                      // 000000004830: BF0A4252
	s_cselect_b32 s20, s36, s60                                // 000000004834: 85143C24
	v_readlane_b32 s82, v3, 3                                  // 000000004838: D2890052 00010703
	s_and_b32 s82, s82, 0xffffff                               // 000000004840: 8652FF52 00FFFFFF
	s_cmp_lt_u32 s82, s66                                      // 000000004848: BF0A4252
	s_cselect_b32 s21, s36, s60                                // 00000000484C: 85153C24
	s_mov_b64 exec, s[20:21]                                   // 000000004850: BEFE0114
	buffer_store_dword v45, v6, s[8:11], 0 offen               // 000000004854: E0701000 80022D06
	buffer_store_dword v47, v6, s[8:11], 0 offen offset:128    // 00000000485C: E0701080 80022F06
	s_mov_b64 exec, s[36:37]                                   // 000000004864: BEFE0124
	v_mov_b32_e32 v6, v40                                      // 000000004868: 7E0C0328
	s_mov_b64 s[60:61], 0                                      // 00000000486C: BEBC0180
	v_readlane_b32 s82, v3, 4                                  // 000000004870: D2890052 00010903
	s_and_b32 s82, s82, 0xffffff                               // 000000004878: 8652FF52 00FFFFFF
	s_cmp_lt_u32 s82, s66                                      // 000000004880: BF0A4252
	s_cselect_b32 s20, s36, s60                                // 000000004884: 85143C24
	v_readlane_b32 s82, v3, 5                                  // 000000004888: D2890052 00010B03
	s_and_b32 s82, s82, 0xffffff                               // 000000004890: 8652FF52 00FFFFFF
	s_cmp_lt_u32 s82, s66                                      // 000000004898: BF0A4252
	s_cselect_b32 s21, s36, s60                                // 00000000489C: 85153C24
	s_mov_b64 exec, s[20:21]                                   // 0000000048A0: BEFE0114
	buffer_store_dword v48, v6, s[8:11], 0 offen               // 0000000048A4: E0701000 80023006
	buffer_store_dword v50, v6, s[8:11], 0 offen offset:128    // 0000000048AC: E0701080 80023206
	s_mov_b64 exec, s[36:37]                                   // 0000000048B4: BEFE0124
	v_mov_b32_e32 v6, v41                                      // 0000000048B8: 7E0C0329
	s_mov_b64 s[60:61], 0                                      // 0000000048BC: BEBC0180
	v_readlane_b32 s82, v3, 6                                  // 0000000048C0: D2890052 00010D03
	s_and_b32 s82, s82, 0xffffff                               // 0000000048C8: 8652FF52 00FFFFFF
	s_cmp_lt_u32 s82, s66                                      // 0000000048D0: BF0A4252
	s_cselect_b32 s20, s36, s60                                // 0000000048D4: 85143C24
	v_readlane_b32 s82, v3, 7                                  // 0000000048D8: D2890052 00010F03
	s_and_b32 s82, s82, 0xffffff                               // 0000000048E0: 8652FF52 00FFFFFF
	s_cmp_lt_u32 s82, s66                                      // 0000000048E8: BF0A4252
	s_cselect_b32 s21, s36, s60                                // 0000000048EC: 85153C24
	s_mov_b64 exec, s[20:21]                                   // 0000000048F0: BEFE0114
	buffer_store_dword v49, v6, s[8:11], 0 offen               // 0000000048F4: E0701000 80023106
	buffer_store_dword v51, v6, s[8:11], 0 offen offset:128    // 0000000048FC: E0701080 80023306
	s_mov_b64 exec, s[36:37]                                   // 000000004904: BEFE0124
	s_branch label_11FC                                        // 000000004908: BF820A36

000000000000490c <label_07C3>:
	ds_write_b64 v20, v[44:45]                                 // 00000000490C: D89A0000 00002C14
	ds_write_b64 v20, v[48:49] offset:4352                     // 000000004914: D89A1100 00003014
	ds_write_b64 v20, v[52:53] offset:2176                     // 00000000491C: D89A0880 00003414
	ds_write_b64 v20, v[56:57] offset:6528                     // 000000004924: D89A1980 00003814
	v_lshrrev_b32_e32 v4, 5, v0                                // 00000000492C: 20080085
	v_xor_b32_e32 v5, 1, v4                                    // 000000004930: 2A0A0881
	s_mul_i32 s60, s65, 2                                      // 000000004934: 923C8241
	s_cmp_eq_u32 s88, 0                                        // 000000004938: BF068058
	s_cselect_b32 s61, 1, 4                                    // 00000000493C: 853D8481
	s_mul_i32 s60, s61, s60                                    // 000000004940: 923C3C3D
	v_readlane_b32 s82, v3, 0                                  // 000000004944: D2890052 00010103
	s_lshr_b32 s61, s82, 24                                    // 00000000494C: 8F3D9852
	s_and_b32 s82, s82, 0xffffff                               // 000000004950: 8652FF52 00FFFFFF
	s_mul_i32 s82, s82, s71                                    // 000000004958: 92524752
	s_mul_i32 s61, s60, s61                                    // 00000000495C: 923D3D3C
	s_add_u32 s82, s82, s61                                    // 000000004960: 80523D52
	v_mul_lo_u32 v6, v5, s82                                   // 000000004964: D2850006 0000A505
	v_readlane_b32 s82, v3, 1                                  // 00000000496C: D2890052 00010303
	s_lshr_b32 s61, s82, 24                                    // 000000004974: 8F3D9852
	s_and_b32 s82, s82, 0xffffff                               // 000000004978: 8652FF52 00FFFFFF
	s_mul_i32 s82, s82, s71                                    // 000000004980: 92524752
	s_mul_i32 s61, s60, s61                                    // 000000004984: 923D3D3C
	s_add_u32 s82, s82, s61                                    // 000000004988: 80523D52
	v_mul_lo_u32 v7, v4, s82                                   // 00000000498C: D2850007 0000A504
	v_add_u32_e32 v38, v6, v7                                  // 000000004994: 684C0F06
	v_readlane_b32 s82, v3, 2                                  // 000000004998: D2890052 00010503
	s_lshr_b32 s61, s82, 24                                    // 0000000049A0: 8F3D9852
	s_and_b32 s82, s82, 0xffffff                               // 0000000049A4: 8652FF52 00FFFFFF
	s_mul_i32 s82, s82, s71                                    // 0000000049AC: 92524752
	s_mul_i32 s61, s60, s61                                    // 0000000049B0: 923D3D3C
	s_add_u32 s82, s82, s61                                    // 0000000049B4: 80523D52
	v_mul_lo_u32 v6, v5, s82                                   // 0000000049B8: D2850006 0000A505
	v_readlane_b32 s82, v3, 3                                  // 0000000049C0: D2890052 00010703
	s_lshr_b32 s61, s82, 24                                    // 0000000049C8: 8F3D9852
	s_and_b32 s82, s82, 0xffffff                               // 0000000049CC: 8652FF52 00FFFFFF
	s_mul_i32 s82, s82, s71                                    // 0000000049D4: 92524752
	s_mul_i32 s61, s60, s61                                    // 0000000049D8: 923D3D3C
	s_add_u32 s82, s82, s61                                    // 0000000049DC: 80523D52
	v_mul_lo_u32 v7, v4, s82                                   // 0000000049E0: D2850007 0000A504
	v_add_u32_e32 v39, v6, v7                                  // 0000000049E8: 684E0F06
	v_readlane_b32 s82, v3, 4                                  // 0000000049EC: D2890052 00010903
	s_lshr_b32 s61, s82, 24                                    // 0000000049F4: 8F3D9852
	s_and_b32 s82, s82, 0xffffff                               // 0000000049F8: 8652FF52 00FFFFFF
	s_mul_i32 s82, s82, s71                                    // 000000004A00: 92524752
	s_mul_i32 s61, s60, s61                                    // 000000004A04: 923D3D3C
	s_add_u32 s82, s82, s61                                    // 000000004A08: 80523D52
	v_mul_lo_u32 v6, v5, s82                                   // 000000004A0C: D2850006 0000A505
	v_readlane_b32 s82, v3, 5                                  // 000000004A14: D2890052 00010B03
	s_lshr_b32 s61, s82, 24                                    // 000000004A1C: 8F3D9852
	s_and_b32 s82, s82, 0xffffff                               // 000000004A20: 8652FF52 00FFFFFF
	s_mul_i32 s82, s82, s71                                    // 000000004A28: 92524752
	s_mul_i32 s61, s60, s61                                    // 000000004A2C: 923D3D3C
	s_add_u32 s82, s82, s61                                    // 000000004A30: 80523D52
	v_mul_lo_u32 v7, v4, s82                                   // 000000004A34: D2850007 0000A504
	v_add_u32_e32 v40, v6, v7                                  // 000000004A3C: 68500F06
	v_readlane_b32 s82, v3, 6                                  // 000000004A40: D2890052 00010D03
	s_lshr_b32 s61, s82, 24                                    // 000000004A48: 8F3D9852
	s_and_b32 s82, s82, 0xffffff                               // 000000004A4C: 8652FF52 00FFFFFF
	s_mul_i32 s82, s82, s71                                    // 000000004A54: 92524752
	s_mul_i32 s61, s60, s61                                    // 000000004A58: 923D3D3C
	s_add_u32 s82, s82, s61                                    // 000000004A5C: 80523D52
	v_mul_lo_u32 v6, v5, s82                                   // 000000004A60: D2850006 0000A505
	v_readlane_b32 s82, v3, 7                                  // 000000004A68: D2890052 00010F03
	s_lshr_b32 s61, s82, 24                                    // 000000004A70: 8F3D9852
	s_and_b32 s82, s82, 0xffffff                               // 000000004A74: 8652FF52 00FFFFFF
	s_mul_i32 s82, s82, s71                                    // 000000004A7C: 92524752
	s_mul_i32 s61, s60, s61                                    // 000000004A80: 923D3D3C
	s_add_u32 s82, s82, s61                                    // 000000004A84: 80523D52
	v_mul_lo_u32 v7, v4, s82                                   // 000000004A88: D2850007 0000A504
	v_add_u32_e32 v41, v6, v7                                  // 000000004A90: 68520F06
	v_and_b32_e32 v4, 31, v0                                   // 000000004A94: 2608009F
	v_lshrrev_b32_e32 v4, 1, v4                                // 000000004A98: 20080881
	s_cmp_eq_u32 s88, 0                                        // 000000004A9C: BF068058
	s_cselect_b32 s61, 2, 4                                    // 000000004AA0: 853D8482
	v_mul_lo_u32 v4, v4, s61                                   // 000000004AA4: D2850004 00007B04
	v_and_b32_e64 v5, v0, 1                                    // 000000004AAC: D1130005 00010300
	v_add_u32_e32 v4, v4, v5                                   // 000000004AB4: 68080B04
	v_lshlrev_b32_e32 v4, 2, v4                                // 000000004AB8: 24080882
	v_add_u32_e32 v38, v38, v4                                 // 000000004ABC: 684C0926
	v_add_u32_e32 v39, v39, v4                                 // 000000004AC0: 684E0927
	v_add_u32_e32 v40, v40, v4                                 // 000000004AC4: 68500928
	v_add_u32_e32 v41, v41, v4                                 // 000000004AC8: 68520929
	s_waitcnt lgkmcnt(0)                                       // 000000004ACC: BF8CC07F
	s_barrier                                                  // 000000004AD0: BF8A0000
	ds_read_b32 v44, v21                                       // 000000004AD4: D86C0000 2C000015
	ds_read_b32 v45, v21 offset:64                             // 000000004ADC: D86C0040 2D000015
	ds_read_b32 v48, v21 offset:2176                           // 000000004AE4: D86C0880 30000015
	ds_read_b32 v49, v21 offset:2240                           // 000000004AEC: D86C08C0 31000015
	ds_read_b32 v52, v21 offset:4352                           // 000000004AF4: D86C1100 34000015
	ds_read_b32 v53, v21 offset:4416                           // 000000004AFC: D86C1140 35000015
	ds_read_b32 v56, v21 offset:6528                           // 000000004B04: D86C1980 38000015
	ds_read_b32 v57, v21 offset:6592                           // 000000004B0C: D86C19C0 39000015
	s_waitcnt lgkmcnt(0)                                       // 000000004B14: BF8CC07F
	s_mov_b32 s36, -1                                          // 000000004B18: BEA400C1
	s_mov_b32 s37, -1                                          // 000000004B1C: BEA500C1
	v_mov_b32_e32 v7, 0                                        // 000000004B20: 7E0E0280
	s_mov_b64 exec, s[36:37]                                   // 000000004B24: BEFE0124
	v_mov_b32_e32 v6, v38                                      // 000000004B28: 7E0C0326
	s_mov_b64 s[60:61], 0                                      // 000000004B2C: BEBC0180
	v_readlane_b32 s82, v3, 0                                  // 000000004B30: D2890052 00010103
	s_and_b32 s82, s82, 0xffffff                               // 000000004B38: 8652FF52 00FFFFFF
	s_cmp_lt_u32 s82, s66                                      // 000000004B40: BF0A4252
	s_cselect_b32 s20, s36, s60                                // 000000004B44: 85143C24
	v_readlane_b32 s82, v3, 1                                  // 000000004B48: D2890052 00010303
	s_and_b32 s82, s82, 0xffffff                               // 000000004B50: 8652FF52 00FFFFFF
	s_cmp_lt_u32 s82, s66                                      // 000000004B58: BF0A4252
	s_cselect_b32 s21, s36, s60                                // 000000004B5C: 85153C24
	s_mov_b64 exec, s[20:21]                                   // 000000004B60: BEFE0114
	global_atomic_add_f32 v6, v44, s[8:9]                      // 000000004B64: DD348000 00082C06
	global_atomic_add_f32 v6, v48, s[8:9] offset:256           // 000000004B6C: DD348100 00083006
	s_mov_b64 exec, s[36:37]                                   // 000000004B74: BEFE0124
	v_mov_b32_e32 v6, v39                                      // 000000004B78: 7E0C0327
	s_mov_b64 s[60:61], 0                                      // 000000004B7C: BEBC0180
	v_readlane_b32 s82, v3, 2                                  // 000000004B80: D2890052 00010503
	s_and_b32 s82, s82, 0xffffff                               // 000000004B88: 8652FF52 00FFFFFF
	s_cmp_lt_u32 s82, s66                                      // 000000004B90: BF0A4252
	s_cselect_b32 s20, s36, s60                                // 000000004B94: 85143C24
	v_readlane_b32 s82, v3, 3                                  // 000000004B98: D2890052 00010703
	s_and_b32 s82, s82, 0xffffff                               // 000000004BA0: 8652FF52 00FFFFFF
	s_cmp_lt_u32 s82, s66                                      // 000000004BA8: BF0A4252
	s_cselect_b32 s21, s36, s60                                // 000000004BAC: 85153C24
	s_mov_b64 exec, s[20:21]                                   // 000000004BB0: BEFE0114
	global_atomic_add_f32 v6, v45, s[8:9]                      // 000000004BB4: DD348000 00082D06
	global_atomic_add_f32 v6, v49, s[8:9] offset:256           // 000000004BBC: DD348100 00083106
	s_mov_b64 exec, s[36:37]                                   // 000000004BC4: BEFE0124
	v_mov_b32_e32 v6, v40                                      // 000000004BC8: 7E0C0328
	s_mov_b64 s[60:61], 0                                      // 000000004BCC: BEBC0180
	v_readlane_b32 s82, v3, 4                                  // 000000004BD0: D2890052 00010903
	s_and_b32 s82, s82, 0xffffff                               // 000000004BD8: 8652FF52 00FFFFFF
	s_cmp_lt_u32 s82, s66                                      // 000000004BE0: BF0A4252
	s_cselect_b32 s20, s36, s60                                // 000000004BE4: 85143C24
	v_readlane_b32 s82, v3, 5                                  // 000000004BE8: D2890052 00010B03
	s_and_b32 s82, s82, 0xffffff                               // 000000004BF0: 8652FF52 00FFFFFF
	s_cmp_lt_u32 s82, s66                                      // 000000004BF8: BF0A4252
	s_cselect_b32 s21, s36, s60                                // 000000004BFC: 85153C24
	s_mov_b64 exec, s[20:21]                                   // 000000004C00: BEFE0114
	global_atomic_add_f32 v6, v52, s[8:9]                      // 000000004C04: DD348000 00083406
	global_atomic_add_f32 v6, v56, s[8:9] offset:256           // 000000004C0C: DD348100 00083806
	s_mov_b64 exec, s[36:37]                                   // 000000004C14: BEFE0124
	v_mov_b32_e32 v6, v41                                      // 000000004C18: 7E0C0329
	s_mov_b64 s[60:61], 0                                      // 000000004C1C: BEBC0180
	v_readlane_b32 s82, v3, 6                                  // 000000004C20: D2890052 00010D03
	s_and_b32 s82, s82, 0xffffff                               // 000000004C28: 8652FF52 00FFFFFF
	s_cmp_lt_u32 s82, s66                                      // 000000004C30: BF0A4252
	s_cselect_b32 s20, s36, s60                                // 000000004C34: 85143C24
	v_readlane_b32 s82, v3, 7                                  // 000000004C38: D2890052 00010F03
	s_and_b32 s82, s82, 0xffffff                               // 000000004C40: 8652FF52 00FFFFFF
	s_cmp_lt_u32 s82, s66                                      // 000000004C48: BF0A4252
	s_cselect_b32 s21, s36, s60                                // 000000004C4C: 85153C24
	s_mov_b64 exec, s[20:21]                                   // 000000004C50: BEFE0114
	global_atomic_add_f32 v6, v53, s[8:9]                      // 000000004C54: DD348000 00083506
	global_atomic_add_f32 v6, v57, s[8:9] offset:256           // 000000004C5C: DD348100 00083906
	s_mov_b64 exec, s[36:37]                                   // 000000004C64: BEFE0124
	ds_write_b64 v20, v[46:47]                                 // 000000004C68: D89A0000 00002E14
	ds_write_b64 v20, v[50:51] offset:4352                     // 000000004C70: D89A1100 00003214
	ds_write_b64 v20, v[54:55] offset:2176                     // 000000004C78: D89A0880 00003614
	ds_write_b64 v20, v[58:59] offset:6528                     // 000000004C80: D89A1980 00003A14
	s_waitcnt lgkmcnt(0)                                       // 000000004C88: BF8CC07F
	s_barrier                                                  // 000000004C8C: BF8A0000
	ds_read_b32 v46, v21                                       // 000000004C90: D86C0000 2E000015
	ds_read_b32 v47, v21 offset:64                             // 000000004C98: D86C0040 2F000015
	ds_read_b32 v50, v21 offset:2176                           // 000000004CA0: D86C0880 32000015
	ds_read_b32 v51, v21 offset:2240                           // 000000004CA8: D86C08C0 33000015
	ds_read_b32 v54, v21 offset:4352                           // 000000004CB0: D86C1100 36000015
	ds_read_b32 v55, v21 offset:4416                           // 000000004CB8: D86C1140 37000015
	ds_read_b32 v58, v21 offset:6528                           // 000000004CC0: D86C1980 3A000015
	ds_read_b32 v59, v21 offset:6592                           // 000000004CC8: D86C19C0 3B000015
	s_waitcnt lgkmcnt(0)                                       // 000000004CD0: BF8CC07F
	v_mov_b32_e32 v7, 0                                        // 000000004CD4: 7E0E0280
	s_mov_b64 exec, s[36:37]                                   // 000000004CD8: BEFE0124
	v_mov_b32_e32 v6, v38                                      // 000000004CDC: 7E0C0326
	s_mov_b64 s[60:61], 0                                      // 000000004CE0: BEBC0180
	v_readlane_b32 s82, v3, 0                                  // 000000004CE4: D2890052 00010103
	s_and_b32 s82, s82, 0xffffff                               // 000000004CEC: 8652FF52 00FFFFFF
	s_cmp_lt_u32 s82, s66                                      // 000000004CF4: BF0A4252
	s_cselect_b32 s20, s36, s60                                // 000000004CF8: 85143C24
	v_readlane_b32 s82, v3, 1                                  // 000000004CFC: D2890052 00010303
	s_and_b32 s82, s82, 0xffffff                               // 000000004D04: 8652FF52 00FFFFFF
	s_cmp_lt_u32 s82, s66                                      // 000000004D0C: BF0A4252
	s_cselect_b32 s21, s36, s60                                // 000000004D10: 85153C24
	s_mov_b64 exec, s[20:21]                                   // 000000004D14: BEFE0114
	global_atomic_add_f32 v6, v46, s[8:9] offset:8             // 000000004D18: DD348008 00082E06
	global_atomic_add_f32 v6, v50, s[8:9] offset:264           // 000000004D20: DD348108 00083206
	s_mov_b64 exec, s[36:37]                                   // 000000004D28: BEFE0124
	v_mov_b32_e32 v6, v39                                      // 000000004D2C: 7E0C0327
	s_mov_b64 s[60:61], 0                                      // 000000004D30: BEBC0180
	v_readlane_b32 s82, v3, 2                                  // 000000004D34: D2890052 00010503
	s_and_b32 s82, s82, 0xffffff                               // 000000004D3C: 8652FF52 00FFFFFF
	s_cmp_lt_u32 s82, s66                                      // 000000004D44: BF0A4252
	s_cselect_b32 s20, s36, s60                                // 000000004D48: 85143C24
	v_readlane_b32 s82, v3, 3                                  // 000000004D4C: D2890052 00010703
	s_and_b32 s82, s82, 0xffffff                               // 000000004D54: 8652FF52 00FFFFFF
	s_cmp_lt_u32 s82, s66                                      // 000000004D5C: BF0A4252
	s_cselect_b32 s21, s36, s60                                // 000000004D60: 85153C24
	s_mov_b64 exec, s[20:21]                                   // 000000004D64: BEFE0114
	global_atomic_add_f32 v6, v47, s[8:9] offset:8             // 000000004D68: DD348008 00082F06
	global_atomic_add_f32 v6, v51, s[8:9] offset:264           // 000000004D70: DD348108 00083306
	s_mov_b64 exec, s[36:37]                                   // 000000004D78: BEFE0124
	v_mov_b32_e32 v6, v40                                      // 000000004D7C: 7E0C0328
	s_mov_b64 s[60:61], 0                                      // 000000004D80: BEBC0180
	v_readlane_b32 s82, v3, 4                                  // 000000004D84: D2890052 00010903
	s_and_b32 s82, s82, 0xffffff                               // 000000004D8C: 8652FF52 00FFFFFF
	s_cmp_lt_u32 s82, s66                                      // 000000004D94: BF0A4252
	s_cselect_b32 s20, s36, s60                                // 000000004D98: 85143C24
	v_readlane_b32 s82, v3, 5                                  // 000000004D9C: D2890052 00010B03
	s_and_b32 s82, s82, 0xffffff                               // 000000004DA4: 8652FF52 00FFFFFF
	s_cmp_lt_u32 s82, s66                                      // 000000004DAC: BF0A4252
	s_cselect_b32 s21, s36, s60                                // 000000004DB0: 85153C24
	s_mov_b64 exec, s[20:21]                                   // 000000004DB4: BEFE0114
	global_atomic_add_f32 v6, v54, s[8:9] offset:8             // 000000004DB8: DD348008 00083606
	global_atomic_add_f32 v6, v58, s[8:9] offset:264           // 000000004DC0: DD348108 00083A06
	s_mov_b64 exec, s[36:37]                                   // 000000004DC8: BEFE0124
	v_mov_b32_e32 v6, v41                                      // 000000004DCC: 7E0C0329
	s_mov_b64 s[60:61], 0                                      // 000000004DD0: BEBC0180
	v_readlane_b32 s82, v3, 6                                  // 000000004DD4: D2890052 00010D03
	s_and_b32 s82, s82, 0xffffff                               // 000000004DDC: 8652FF52 00FFFFFF
	s_cmp_lt_u32 s82, s66                                      // 000000004DE4: BF0A4252
	s_cselect_b32 s20, s36, s60                                // 000000004DE8: 85143C24
	v_readlane_b32 s82, v3, 7                                  // 000000004DEC: D2890052 00010F03
	s_and_b32 s82, s82, 0xffffff                               // 000000004DF4: 8652FF52 00FFFFFF
	s_cmp_lt_u32 s82, s66                                      // 000000004DFC: BF0A4252
	s_cselect_b32 s21, s36, s60                                // 000000004E00: 85153C24
	s_mov_b64 exec, s[20:21]                                   // 000000004E04: BEFE0114
	global_atomic_add_f32 v6, v55, s[8:9] offset:8             // 000000004E08: DD348008 00083706
	global_atomic_add_f32 v6, v59, s[8:9] offset:264           // 000000004E10: DD348108 00083B06
	s_mov_b64 exec, s[36:37]                                   // 000000004E18: BEFE0124
	ds_write_b64 v20, v[60:61]                                 // 000000004E1C: D89A0000 00003C14
	ds_write_b64 v20, v[64:65] offset:4352                     // 000000004E24: D89A1100 00004014
	ds_write_b64 v20, v[68:69] offset:2176                     // 000000004E2C: D89A0880 00004414
	ds_write_b64 v20, v[72:73] offset:6528                     // 000000004E34: D89A1980 00004814
	s_waitcnt lgkmcnt(0)                                       // 000000004E3C: BF8CC07F
	s_barrier                                                  // 000000004E40: BF8A0000
	ds_read_b32 v60, v21                                       // 000000004E44: D86C0000 3C000015
	ds_read_b32 v61, v21 offset:64                             // 000000004E4C: D86C0040 3D000015
	ds_read_b32 v64, v21 offset:2176                           // 000000004E54: D86C0880 40000015
	ds_read_b32 v65, v21 offset:2240                           // 000000004E5C: D86C08C0 41000015
	ds_read_b32 v68, v21 offset:4352                           // 000000004E64: D86C1100 44000015
	ds_read_b32 v69, v21 offset:4416                           // 000000004E6C: D86C1140 45000015
	ds_read_b32 v72, v21 offset:6528                           // 000000004E74: D86C1980 48000015
	ds_read_b32 v73, v21 offset:6592                           // 000000004E7C: D86C19C0 49000015
	s_mul_i32 s60, s65, 4                                      // 000000004E84: 923C8441
	s_add_u32 s8, s60, s8                                      // 000000004E88: 8008083C
	s_addc_u32 s9, 0, s9                                       // 000000004E8C: 82090980
	s_waitcnt lgkmcnt(0)                                       // 000000004E90: BF8CC07F
	v_mov_b32_e32 v7, 0                                        // 000000004E94: 7E0E0280
	s_mov_b64 exec, s[36:37]                                   // 000000004E98: BEFE0124
	v_mov_b32_e32 v6, v38                                      // 000000004E9C: 7E0C0326
	s_mov_b64 s[60:61], 0                                      // 000000004EA0: BEBC0180
	v_readlane_b32 s82, v3, 0                                  // 000000004EA4: D2890052 00010103
	s_and_b32 s82, s82, 0xffffff                               // 000000004EAC: 8652FF52 00FFFFFF
	s_cmp_lt_u32 s82, s66                                      // 000000004EB4: BF0A4252
	s_cselect_b32 s20, s36, s60                                // 000000004EB8: 85143C24
	v_readlane_b32 s82, v3, 1                                  // 000000004EBC: D2890052 00010303
	s_and_b32 s82, s82, 0xffffff                               // 000000004EC4: 8652FF52 00FFFFFF
	s_cmp_lt_u32 s82, s66                                      // 000000004ECC: BF0A4252
	s_cselect_b32 s21, s36, s60                                // 000000004ED0: 85153C24
	s_mov_b64 exec, s[20:21]                                   // 000000004ED4: BEFE0114
	global_atomic_add_f32 v6, v60, s[8:9]                      // 000000004ED8: DD348000 00083C06
	global_atomic_add_f32 v6, v64, s[8:9] offset:256           // 000000004EE0: DD348100 00084006
	s_mov_b64 exec, s[36:37]                                   // 000000004EE8: BEFE0124
	v_mov_b32_e32 v6, v39                                      // 000000004EEC: 7E0C0327
	s_mov_b64 s[60:61], 0                                      // 000000004EF0: BEBC0180
	v_readlane_b32 s82, v3, 2                                  // 000000004EF4: D2890052 00010503
	s_and_b32 s82, s82, 0xffffff                               // 000000004EFC: 8652FF52 00FFFFFF
	s_cmp_lt_u32 s82, s66                                      // 000000004F04: BF0A4252
	s_cselect_b32 s20, s36, s60                                // 000000004F08: 85143C24
	v_readlane_b32 s82, v3, 3                                  // 000000004F0C: D2890052 00010703
	s_and_b32 s82, s82, 0xffffff                               // 000000004F14: 8652FF52 00FFFFFF
	s_cmp_lt_u32 s82, s66                                      // 000000004F1C: BF0A4252
	s_cselect_b32 s21, s36, s60                                // 000000004F20: 85153C24
	s_mov_b64 exec, s[20:21]                                   // 000000004F24: BEFE0114
	global_atomic_add_f32 v6, v61, s[8:9]                      // 000000004F28: DD348000 00083D06
	global_atomic_add_f32 v6, v65, s[8:9] offset:256           // 000000004F30: DD348100 00084106
	s_mov_b64 exec, s[36:37]                                   // 000000004F38: BEFE0124
	v_mov_b32_e32 v6, v40                                      // 000000004F3C: 7E0C0328
	s_mov_b64 s[60:61], 0                                      // 000000004F40: BEBC0180
	v_readlane_b32 s82, v3, 4                                  // 000000004F44: D2890052 00010903
	s_and_b32 s82, s82, 0xffffff                               // 000000004F4C: 8652FF52 00FFFFFF
	s_cmp_lt_u32 s82, s66                                      // 000000004F54: BF0A4252
	s_cselect_b32 s20, s36, s60                                // 000000004F58: 85143C24
	v_readlane_b32 s82, v3, 5                                  // 000000004F5C: D2890052 00010B03
	s_and_b32 s82, s82, 0xffffff                               // 000000004F64: 8652FF52 00FFFFFF
	s_cmp_lt_u32 s82, s66                                      // 000000004F6C: BF0A4252
	s_cselect_b32 s21, s36, s60                                // 000000004F70: 85153C24
	s_mov_b64 exec, s[20:21]                                   // 000000004F74: BEFE0114
	global_atomic_add_f32 v6, v68, s[8:9]                      // 000000004F78: DD348000 00084406
	global_atomic_add_f32 v6, v72, s[8:9] offset:256           // 000000004F80: DD348100 00084806
	s_mov_b64 exec, s[36:37]                                   // 000000004F88: BEFE0124
	v_mov_b32_e32 v6, v41                                      // 000000004F8C: 7E0C0329
	s_mov_b64 s[60:61], 0                                      // 000000004F90: BEBC0180
	v_readlane_b32 s82, v3, 6                                  // 000000004F94: D2890052 00010D03
	s_and_b32 s82, s82, 0xffffff                               // 000000004F9C: 8652FF52 00FFFFFF
	s_cmp_lt_u32 s82, s66                                      // 000000004FA4: BF0A4252
	s_cselect_b32 s20, s36, s60                                // 000000004FA8: 85143C24
	v_readlane_b32 s82, v3, 7                                  // 000000004FAC: D2890052 00010F03
	s_and_b32 s82, s82, 0xffffff                               // 000000004FB4: 8652FF52 00FFFFFF
	s_cmp_lt_u32 s82, s66                                      // 000000004FBC: BF0A4252
	s_cselect_b32 s21, s36, s60                                // 000000004FC0: 85153C24
	s_mov_b64 exec, s[20:21]                                   // 000000004FC4: BEFE0114
	global_atomic_add_f32 v6, v69, s[8:9]                      // 000000004FC8: DD348000 00084506
	global_atomic_add_f32 v6, v73, s[8:9] offset:256           // 000000004FD0: DD348100 00084906
	s_mov_b64 exec, s[36:37]                                   // 000000004FD8: BEFE0124
	ds_write_b64 v20, v[62:63]                                 // 000000004FDC: D89A0000 00003E14
	ds_write_b64 v20, v[66:67] offset:4352                     // 000000004FE4: D89A1100 00004214
	ds_write_b64 v20, v[70:71] offset:2176                     // 000000004FEC: D89A0880 00004614
	ds_write_b64 v20, v[74:75] offset:6528                     // 000000004FF4: D89A1980 00004A14
	s_waitcnt lgkmcnt(0)                                       // 000000004FFC: BF8CC07F
	s_barrier                                                  // 000000005000: BF8A0000
	ds_read_b32 v62, v21                                       // 000000005004: D86C0000 3E000015
	ds_read_b32 v63, v21 offset:64                             // 00000000500C: D86C0040 3F000015
	ds_read_b32 v66, v21 offset:2176                           // 000000005014: D86C0880 42000015
	ds_read_b32 v67, v21 offset:2240                           // 00000000501C: D86C08C0 43000015
	ds_read_b32 v70, v21 offset:4352                           // 000000005024: D86C1100 46000015
	ds_read_b32 v71, v21 offset:4416                           // 00000000502C: D86C1140 47000015
	ds_read_b32 v74, v21 offset:6528                           // 000000005034: D86C1980 4A000015
	ds_read_b32 v75, v21 offset:6592                           // 00000000503C: D86C19C0 4B000015
	s_waitcnt lgkmcnt(0)                                       // 000000005044: BF8CC07F
	v_mov_b32_e32 v7, 0                                        // 000000005048: 7E0E0280
	s_mov_b64 exec, s[36:37]                                   // 00000000504C: BEFE0124
	v_mov_b32_e32 v6, v38                                      // 000000005050: 7E0C0326
	s_mov_b64 s[60:61], 0                                      // 000000005054: BEBC0180
	v_readlane_b32 s82, v3, 0                                  // 000000005058: D2890052 00010103
	s_and_b32 s82, s82, 0xffffff                               // 000000005060: 8652FF52 00FFFFFF
	s_cmp_lt_u32 s82, s66                                      // 000000005068: BF0A4252
	s_cselect_b32 s20, s36, s60                                // 00000000506C: 85143C24
	v_readlane_b32 s82, v3, 1                                  // 000000005070: D2890052 00010303
	s_and_b32 s82, s82, 0xffffff                               // 000000005078: 8652FF52 00FFFFFF
	s_cmp_lt_u32 s82, s66                                      // 000000005080: BF0A4252
	s_cselect_b32 s21, s36, s60                                // 000000005084: 85153C24
	s_mov_b64 exec, s[20:21]                                   // 000000005088: BEFE0114
	global_atomic_add_f32 v6, v62, s[8:9] offset:8             // 00000000508C: DD348008 00083E06
	global_atomic_add_f32 v6, v66, s[8:9] offset:264           // 000000005094: DD348108 00084206
	s_mov_b64 exec, s[36:37]                                   // 00000000509C: BEFE0124
	v_mov_b32_e32 v6, v39                                      // 0000000050A0: 7E0C0327
	s_mov_b64 s[60:61], 0                                      // 0000000050A4: BEBC0180
	v_readlane_b32 s82, v3, 2                                  // 0000000050A8: D2890052 00010503
	s_and_b32 s82, s82, 0xffffff                               // 0000000050B0: 8652FF52 00FFFFFF
	s_cmp_lt_u32 s82, s66                                      // 0000000050B8: BF0A4252
	s_cselect_b32 s20, s36, s60                                // 0000000050BC: 85143C24
	v_readlane_b32 s82, v3, 3                                  // 0000000050C0: D2890052 00010703
	s_and_b32 s82, s82, 0xffffff                               // 0000000050C8: 8652FF52 00FFFFFF
	s_cmp_lt_u32 s82, s66                                      // 0000000050D0: BF0A4252
	s_cselect_b32 s21, s36, s60                                // 0000000050D4: 85153C24
	s_mov_b64 exec, s[20:21]                                   // 0000000050D8: BEFE0114
	global_atomic_add_f32 v6, v63, s[8:9] offset:8             // 0000000050DC: DD348008 00083F06
	global_atomic_add_f32 v6, v67, s[8:9] offset:264           // 0000000050E4: DD348108 00084306
	s_mov_b64 exec, s[36:37]                                   // 0000000050EC: BEFE0124
	v_mov_b32_e32 v6, v40                                      // 0000000050F0: 7E0C0328
	s_mov_b64 s[60:61], 0                                      // 0000000050F4: BEBC0180
	v_readlane_b32 s82, v3, 4                                  // 0000000050F8: D2890052 00010903
	s_and_b32 s82, s82, 0xffffff                               // 000000005100: 8652FF52 00FFFFFF
	s_cmp_lt_u32 s82, s66                                      // 000000005108: BF0A4252
	s_cselect_b32 s20, s36, s60                                // 00000000510C: 85143C24
	v_readlane_b32 s82, v3, 5                                  // 000000005110: D2890052 00010B03
	s_and_b32 s82, s82, 0xffffff                               // 000000005118: 8652FF52 00FFFFFF
	s_cmp_lt_u32 s82, s66                                      // 000000005120: BF0A4252
	s_cselect_b32 s21, s36, s60                                // 000000005124: 85153C24
	s_mov_b64 exec, s[20:21]                                   // 000000005128: BEFE0114
	global_atomic_add_f32 v6, v70, s[8:9] offset:8             // 00000000512C: DD348008 00084606
	global_atomic_add_f32 v6, v74, s[8:9] offset:264           // 000000005134: DD348108 00084A06
	s_mov_b64 exec, s[36:37]                                   // 00000000513C: BEFE0124
	v_mov_b32_e32 v6, v41                                      // 000000005140: 7E0C0329
	s_mov_b64 s[60:61], 0                                      // 000000005144: BEBC0180
	v_readlane_b32 s82, v3, 6                                  // 000000005148: D2890052 00010D03
	s_and_b32 s82, s82, 0xffffff                               // 000000005150: 8652FF52 00FFFFFF
	s_cmp_lt_u32 s82, s66                                      // 000000005158: BF0A4252
	s_cselect_b32 s20, s36, s60                                // 00000000515C: 85143C24
	v_readlane_b32 s82, v3, 7                                  // 000000005160: D2890052 00010F03
	s_and_b32 s82, s82, 0xffffff                               // 000000005168: 8652FF52 00FFFFFF
	s_cmp_lt_u32 s82, s66                                      // 000000005170: BF0A4252
	s_cselect_b32 s21, s36, s60                                // 000000005174: 85153C24
	s_mov_b64 exec, s[20:21]                                   // 000000005178: BEFE0114
	global_atomic_add_f32 v6, v71, s[8:9] offset:8             // 00000000517C: DD348008 00084706
	global_atomic_add_f32 v6, v75, s[8:9] offset:264           // 000000005184: DD348108 00084B06
	s_mov_b64 exec, s[36:37]                                   // 00000000518C: BEFE0124
	s_branch label_11FC                                        // 000000005190: BF820814

0000000000005194 <label_09E8>:
	s_waitcnt vmcnt(8) lgkmcnt(0)                              // 000000005194: BF8C0078
	v_mfma_i32_16x16x32_i8 v[44:47], a[32:33], a[0:1], v[44:47]// 000000005198: D3D7002C 1CB20120
	buffer_load_dwordx4 a[64:67], v42, s[24:27], 0 offen       // 0000000051A0: E05C1000 8086402A
	v_mfma_i32_16x16x32_i8 v[44:47], a[34:35], a[2:3], v[44:47]// 0000000051A8: D3D7002C 1CB20522
	v_mfma_i32_16x16x32_i8 v[44:47], a[36:37], a[4:5], v[44:47]// 0000000051B0: D3D7002C 1CB20924
	v_mfma_i32_16x16x32_i8 v[44:47], a[38:39], a[6:7], v[44:47]// 0000000051B8: D3D7002C 1CB20D26
	v_mfma_i32_16x16x32_i8 v[52:55], a[40:41], a[0:1], v[52:55]// 0000000051C0: D3D70034 1CD20128
	buffer_load_dwordx4 a[68:71], v42, s[24:27], 0 offen offset:1024// 0000000051C8: E05C1400 8086442A
	v_mfma_i32_16x16x32_i8 v[52:55], a[42:43], a[2:3], v[52:55]// 0000000051D0: D3D70034 1CD2052A
	v_mfma_i32_16x16x32_i8 v[52:55], a[44:45], a[4:5], v[52:55]// 0000000051D8: D3D70034 1CD2092C
	v_mfma_i32_16x16x32_i8 v[52:55], a[46:47], a[6:7], v[52:55]// 0000000051E0: D3D70034 1CD20D2E
	v_mfma_i32_16x16x32_i8 v[48:51], a[32:33], a[8:9], v[48:51]// 0000000051E8: D3D70030 1CC21120
	buffer_load_dwordx4 a[72:75], v43, s[24:27], 0 offen       // 0000000051F0: E05C1000 8086482B
	v_mfma_i32_16x16x32_i8 v[48:51], a[34:35], a[10:11], v[48:51]// 0000000051F8: D3D70030 1CC21522
	v_mfma_i32_16x16x32_i8 v[48:51], a[36:37], a[12:13], v[48:51]// 000000005200: D3D70030 1CC21924
	v_mfma_i32_16x16x32_i8 v[48:51], a[38:39], a[14:15], v[48:51]// 000000005208: D3D70030 1CC21D26
	v_mfma_i32_16x16x32_i8 v[56:59], a[40:41], a[8:9], v[56:59]// 000000005210: D3D70038 1CE21128
	buffer_load_dwordx4 a[76:79], v43, s[24:27], 0 offen offset:1024// 000000005218: E05C1400 80864C2B
	buffer_load_dword v38, s[20:23], 0 offen lds               // 000000005220: E0511000 80050026
	s_add_u32 m0, 0x100, s50                                   // 000000005228: 807C32FF 00000100
	v_mfma_i32_16x16x32_i8 v[56:59], a[42:43], a[10:11], v[56:59]// 000000005230: D3D70038 1CE2152A
	v_mfma_i32_16x16x32_i8 v[56:59], a[44:45], a[12:13], v[56:59]// 000000005238: D3D70038 1CE2192C
	buffer_load_dword v39, s[20:23], 0 offen lds               // 000000005240: E0511000 80050027
	s_add_u32 m0, 0x200, s50                                   // 000000005248: 807C32FF 00000200
	v_mfma_i32_16x16x32_i8 v[56:59], a[46:47], a[14:15], v[56:59]// 000000005250: D3D70038 1CE21D2E
	buffer_load_dword v40, s[20:23], 0 offen lds               // 000000005258: E0511000 80050028
	s_add_u32 m0, 0x300, s50                                   // 000000005260: 807C32FF 00000300
	buffer_load_dword v41, s[20:23], 0 offen lds               // 000000005268: E0511000 80050029
	s_add_u32 m0, 0, s48                                       // 000000005270: 807C3080
	s_waitcnt vmcnt(8)                                         // 000000005274: BF8C0F78
	s_barrier                                                  // 000000005278: BF8A0000
	v_mfma_i32_16x16x32_i8 v[60:63], a[48:49], a[0:1], v[60:63]// 00000000527C: D3D7003C 1CF20130
	buffer_load_dwordx4 a[32:35], v42, s[84:87], 0 offen       // 000000005284: E05C1000 8095202A
	v_mfma_i32_16x16x32_i8 v[60:63], a[50:51], a[2:3], v[60:63]// 00000000528C: D3D7003C 1CF20532
	v_mfma_i32_16x16x32_i8 v[60:63], a[52:53], a[4:5], v[60:63]// 000000005294: D3D7003C 1CF20934
	ds_read_b128 a[16:19], v2 offset:4224                      // 00000000529C: DBFE1080 10000002
	ds_read_b128 a[20:23], v2 offset:4288                      // 0000000052A4: DBFE10C0 14000002
	v_mfma_i32_16x16x32_i8 v[60:63], a[54:55], a[6:7], v[60:63]// 0000000052AC: D3D7003C 1CF20D36
	v_mfma_i32_16x16x32_i8 v[68:71], a[56:57], a[0:1], v[68:71]// 0000000052B4: D3D70044 1D120138
	buffer_load_dwordx4 a[36:39], v42, s[84:87], 0 offen offset:1024// 0000000052BC: E05C1400 8095242A
	v_mfma_i32_16x16x32_i8 v[68:71], a[58:59], a[2:3], v[68:71]// 0000000052C4: D3D70044 1D12053A
	v_mfma_i32_16x16x32_i8 v[68:71], a[60:61], a[4:5], v[68:71]// 0000000052CC: D3D70044 1D12093C
	ds_read_b128 a[24:27], v2 offset:4736                      // 0000000052D4: DBFE1280 18000002
	ds_read_b128 a[28:31], v2 offset:4800                      // 0000000052DC: DBFE12C0 1C000002
	v_mfma_i32_16x16x32_i8 v[68:71], a[62:63], a[6:7], v[68:71]// 0000000052E4: D3D70044 1D120D3E
	v_mfma_i32_16x16x32_i8 v[64:67], a[48:49], a[8:9], v[64:67]// 0000000052EC: D3D70040 1D021130
	buffer_load_dwordx4 a[40:43], v43, s[84:87], 0 offen       // 0000000052F4: E05C1000 8095282B
	s_add_u32 s60, 0x180, s80                                  // 0000000052FC: 803C50FF 00000180
	s_cmp_lt_u32 s60, s81                                      // 000000005304: BF0A513C
	s_cselect_b32 s57, s57, 0                                  // 000000005308: 85398039
	v_mfma_i32_16x16x32_i8 v[64:67], a[50:51], a[10:11], v[64:67]// 00000000530C: D3D70040 1D021532
	s_add_u32 s60, 0x100, s80                                  // 000000005314: 803C50FF 00000100
	s_cmp_lt_u32 s60, s81                                      // 00000000531C: BF0A513C
	s_cselect_b32 s58, s58, 0                                  // 000000005320: 853A803A
	v_mfma_i32_16x16x32_i8 v[64:67], a[52:53], a[12:13], v[64:67]// 000000005324: D3D70040 1D021934
	s_add_u32 s60, 0x100, s80                                  // 00000000532C: 803C50FF 00000100
	s_cmp_lt_u32 s60, s81                                      // 000000005334: BF0A513C
	s_cselect_b32 s83, s83, 0                                  // 000000005338: 85538053
	v_mfma_i32_16x16x32_i8 v[64:67], a[54:55], a[14:15], v[64:67]// 00000000533C: D3D70040 1D021D36
	s_add_u32 s24, s58, s24                                    // 000000005344: 8018183A
	s_addc_u32 s25, 0, s25                                     // 000000005348: 82191980
	v_mfma_i32_16x16x32_i8 v[72:75], a[56:57], a[8:9], v[72:75]// 00000000534C: D3D70048 1D221138
	buffer_load_dwordx4 a[44:47], v43, s[84:87], 0 offen offset:1024// 000000005354: E05C1400 80952C2B
	s_add_u32 s20, s57, s20                                    // 00000000535C: 80141439
	s_addc_u32 s21, 0, s21                                     // 000000005360: 82151580
	v_mfma_i32_16x16x32_i8 v[72:75], a[58:59], a[10:11], v[72:75]// 000000005364: D3D70048 1D22153A
	s_add_u32 s84, s83, s84                                    // 00000000536C: 80545453
	s_addc_u32 s85, 0, s85                                     // 000000005370: 82555580
	v_mfma_i32_16x16x32_i8 v[72:75], a[60:61], a[12:13], v[72:75]// 000000005374: D3D70048 1D22193C
	v_mfma_i32_16x16x32_i8 v[72:75], a[62:63], a[14:15], v[72:75]// 00000000537C: D3D70048 1D221D3E
	s_addk_i32 s80, 0x80                                       // 000000005384: B7500080
	s_cmp_lt_i32 s80, s81                                      // 000000005388: BF045150
	s_cbranch_scc0 label_0CE3                                  // 00000000538C: BF84027C
	s_waitcnt vmcnt(8) lgkmcnt(0)                              // 000000005390: BF8C0078
	v_mfma_i32_16x16x32_i8 v[44:47], a[64:65], a[16:17], v[44:47]// 000000005394: D3D7002C 1CB22140
	buffer_load_dwordx4 a[48:51], v42, s[24:27], 0 offen       // 00000000539C: E05C1000 8086302A
	v_mfma_i32_16x16x32_i8 v[44:47], a[66:67], a[18:19], v[44:47]// 0000000053A4: D3D7002C 1CB22542
	v_mfma_i32_16x16x32_i8 v[44:47], a[68:69], a[20:21], v[44:47]// 0000000053AC: D3D7002C 1CB22944
	v_mfma_i32_16x16x32_i8 v[44:47], a[70:71], a[22:23], v[44:47]// 0000000053B4: D3D7002C 1CB22D46
	v_mfma_i32_16x16x32_i8 v[52:55], a[72:73], a[16:17], v[52:55]// 0000000053BC: D3D70034 1CD22148
	buffer_load_dwordx4 a[52:55], v42, s[24:27], 0 offen offset:1024// 0000000053C4: E05C1400 8086342A
	v_mfma_i32_16x16x32_i8 v[52:55], a[74:75], a[18:19], v[52:55]// 0000000053CC: D3D70034 1CD2254A
	v_mfma_i32_16x16x32_i8 v[52:55], a[76:77], a[20:21], v[52:55]// 0000000053D4: D3D70034 1CD2294C
	v_mfma_i32_16x16x32_i8 v[52:55], a[78:79], a[22:23], v[52:55]// 0000000053DC: D3D70034 1CD22D4E
	v_mfma_i32_16x16x32_i8 v[48:51], a[64:65], a[24:25], v[48:51]// 0000000053E4: D3D70030 1CC23140
	buffer_load_dwordx4 a[56:59], v43, s[24:27], 0 offen       // 0000000053EC: E05C1000 8086382B
	v_mfma_i32_16x16x32_i8 v[48:51], a[66:67], a[26:27], v[48:51]// 0000000053F4: D3D70030 1CC23542
	v_mfma_i32_16x16x32_i8 v[48:51], a[68:69], a[28:29], v[48:51]// 0000000053FC: D3D70030 1CC23944
	v_mfma_i32_16x16x32_i8 v[48:51], a[70:71], a[30:31], v[48:51]// 000000005404: D3D70030 1CC23D46
	v_mfma_i32_16x16x32_i8 v[56:59], a[72:73], a[24:25], v[56:59]// 00000000540C: D3D70038 1CE23148
	buffer_load_dwordx4 a[60:63], v43, s[24:27], 0 offen offset:1024// 000000005414: E05C1400 80863C2B
	buffer_load_dword v38, s[20:23], 0 offen lds               // 00000000541C: E0511000 80050026
	s_add_u32 m0, 0x100, s48                                   // 000000005424: 807C30FF 00000100
	v_mfma_i32_16x16x32_i8 v[56:59], a[74:75], a[26:27], v[56:59]// 00000000542C: D3D70038 1CE2354A
	v_mfma_i32_16x16x32_i8 v[56:59], a[76:77], a[28:29], v[56:59]// 000000005434: D3D70038 1CE2394C
	buffer_load_dword v39, s[20:23], 0 offen lds               // 00000000543C: E0511000 80050027
	s_add_u32 m0, 0x200, s48                                   // 000000005444: 807C30FF 00000200
	v_mfma_i32_16x16x32_i8 v[56:59], a[78:79], a[30:31], v[56:59]// 00000000544C: D3D70038 1CE23D4E
	buffer_load_dword v40, s[20:23], 0 offen lds               // 000000005454: E0511000 80050028
	s_add_u32 m0, 0x300, s48                                   // 00000000545C: 807C30FF 00000300
	buffer_load_dword v41, s[20:23], 0 offen lds               // 000000005464: E0511000 80050029
	s_add_u32 m0, 0, s49                                       // 00000000546C: 807C3180
	s_waitcnt vmcnt(8)                                         // 000000005470: BF8C0F78
	s_barrier                                                  // 000000005474: BF8A0000
	v_mfma_i32_16x16x32_i8 v[60:63], a[32:33], a[16:17], v[60:63]// 000000005478: D3D7003C 1CF22120
	buffer_load_dwordx4 a[64:67], v42, s[84:87], 0 offen       // 000000005480: E05C1000 8095402A
	v_mfma_i32_16x16x32_i8 v[60:63], a[34:35], a[18:19], v[60:63]// 000000005488: D3D7003C 1CF22522
	v_mfma_i32_16x16x32_i8 v[60:63], a[36:37], a[20:21], v[60:63]// 000000005490: D3D7003C 1CF22924
	ds_read_b128 a[0:3], v2 offset:8448                        // 000000005498: DBFE2100 00000002
	ds_read_b128 a[4:7], v2 offset:8512                        // 0000000054A0: DBFE2140 04000002
	v_mfma_i32_16x16x32_i8 v[60:63], a[38:39], a[22:23], v[60:63]// 0000000054A8: D3D7003C 1CF22D26
	v_mfma_i32_16x16x32_i8 v[68:71], a[40:41], a[16:17], v[68:71]// 0000000054B0: D3D70044 1D122128
	buffer_load_dwordx4 a[68:71], v42, s[84:87], 0 offen offset:1024// 0000000054B8: E05C1400 8095442A
	v_mfma_i32_16x16x32_i8 v[68:71], a[42:43], a[18:19], v[68:71]// 0000000054C0: D3D70044 1D12252A
	v_mfma_i32_16x16x32_i8 v[68:71], a[44:45], a[20:21], v[68:71]// 0000000054C8: D3D70044 1D12292C
	ds_read_b128 a[8:11], v2 offset:8960                       // 0000000054D0: DBFE2300 08000002
	ds_read_b128 a[12:15], v2 offset:9024                      // 0000000054D8: DBFE2340 0C000002
	v_mfma_i32_16x16x32_i8 v[68:71], a[46:47], a[22:23], v[68:71]// 0000000054E0: D3D70044 1D122D2E
	v_mfma_i32_16x16x32_i8 v[64:67], a[32:33], a[24:25], v[64:67]// 0000000054E8: D3D70040 1D023120
	buffer_load_dwordx4 a[72:75], v43, s[84:87], 0 offen       // 0000000054F0: E05C1000 8095482B
	s_add_u32 s60, 0x180, s80                                  // 0000000054F8: 803C50FF 00000180
	s_cmp_lt_u32 s60, s81                                      // 000000005500: BF0A513C
	s_cselect_b32 s57, s57, 0                                  // 000000005504: 85398039
	v_mfma_i32_16x16x32_i8 v[64:67], a[34:35], a[26:27], v[64:67]// 000000005508: D3D70040 1D023522
	s_add_u32 s60, 0x100, s80                                  // 000000005510: 803C50FF 00000100
	s_cmp_lt_u32 s60, s81                                      // 000000005518: BF0A513C
	s_cselect_b32 s58, s58, 0                                  // 00000000551C: 853A803A
	v_mfma_i32_16x16x32_i8 v[64:67], a[36:37], a[28:29], v[64:67]// 000000005520: D3D70040 1D023924
	s_add_u32 s60, 0x100, s80                                  // 000000005528: 803C50FF 00000100
	s_cmp_lt_u32 s60, s81                                      // 000000005530: BF0A513C
	s_cselect_b32 s83, s83, 0                                  // 000000005534: 85538053
	v_mfma_i32_16x16x32_i8 v[64:67], a[38:39], a[30:31], v[64:67]// 000000005538: D3D70040 1D023D26
	s_add_u32 s24, s58, s24                                    // 000000005540: 8018183A
	s_addc_u32 s25, 0, s25                                     // 000000005544: 82191980
	v_mfma_i32_16x16x32_i8 v[72:75], a[40:41], a[24:25], v[72:75]// 000000005548: D3D70048 1D223128
	buffer_load_dwordx4 a[76:79], v43, s[84:87], 0 offen offset:1024// 000000005550: E05C1400 80954C2B
	s_add_u32 s20, s57, s20                                    // 000000005558: 80141439
	s_addc_u32 s21, 0, s21                                     // 00000000555C: 82151580
	v_mfma_i32_16x16x32_i8 v[72:75], a[42:43], a[26:27], v[72:75]// 000000005560: D3D70048 1D22352A
	s_add_u32 s84, s83, s84                                    // 000000005568: 80545453
	s_addc_u32 s85, 0, s85                                     // 00000000556C: 82555580
	v_mfma_i32_16x16x32_i8 v[72:75], a[44:45], a[28:29], v[72:75]// 000000005570: D3D70048 1D22392C
	v_mfma_i32_16x16x32_i8 v[72:75], a[46:47], a[30:31], v[72:75]// 000000005578: D3D70048 1D223D2E
	s_addk_i32 s80, 0x80                                       // 000000005580: B7500080
	s_cmp_lt_i32 s80, s81                                      // 000000005584: BF045150
	s_cbranch_scc0 label_0CE3                                  // 000000005588: BF8401FD
	s_waitcnt vmcnt(8) lgkmcnt(0)                              // 00000000558C: BF8C0078
	v_mfma_i32_16x16x32_i8 v[44:47], a[48:49], a[0:1], v[44:47]// 000000005590: D3D7002C 1CB20130
	buffer_load_dwordx4 a[32:35], v42, s[24:27], 0 offen       // 000000005598: E05C1000 8086202A
	v_mfma_i32_16x16x32_i8 v[44:47], a[50:51], a[2:3], v[44:47]// 0000000055A0: D3D7002C 1CB20532
	v_mfma_i32_16x16x32_i8 v[44:47], a[52:53], a[4:5], v[44:47]// 0000000055A8: D3D7002C 1CB20934
	v_mfma_i32_16x16x32_i8 v[44:47], a[54:55], a[6:7], v[44:47]// 0000000055B0: D3D7002C 1CB20D36
	v_mfma_i32_16x16x32_i8 v[52:55], a[56:57], a[0:1], v[52:55]// 0000000055B8: D3D70034 1CD20138
	buffer_load_dwordx4 a[36:39], v42, s[24:27], 0 offen offset:1024// 0000000055C0: E05C1400 8086242A
	v_mfma_i32_16x16x32_i8 v[52:55], a[58:59], a[2:3], v[52:55]// 0000000055C8: D3D70034 1CD2053A
	v_mfma_i32_16x16x32_i8 v[52:55], a[60:61], a[4:5], v[52:55]// 0000000055D0: D3D70034 1CD2093C
	v_mfma_i32_16x16x32_i8 v[52:55], a[62:63], a[6:7], v[52:55]// 0000000055D8: D3D70034 1CD20D3E
	v_mfma_i32_16x16x32_i8 v[48:51], a[48:49], a[8:9], v[48:51]// 0000000055E0: D3D70030 1CC21130
	buffer_load_dwordx4 a[40:43], v43, s[24:27], 0 offen       // 0000000055E8: E05C1000 8086282B
	v_mfma_i32_16x16x32_i8 v[48:51], a[50:51], a[10:11], v[48:51]// 0000000055F0: D3D70030 1CC21532
	v_mfma_i32_16x16x32_i8 v[48:51], a[52:53], a[12:13], v[48:51]// 0000000055F8: D3D70030 1CC21934
	v_mfma_i32_16x16x32_i8 v[48:51], a[54:55], a[14:15], v[48:51]// 000000005600: D3D70030 1CC21D36
	v_mfma_i32_16x16x32_i8 v[56:59], a[56:57], a[8:9], v[56:59]// 000000005608: D3D70038 1CE21138
	buffer_load_dwordx4 a[44:47], v43, s[24:27], 0 offen offset:1024// 000000005610: E05C1400 80862C2B
	buffer_load_dword v38, s[20:23], 0 offen lds               // 000000005618: E0511000 80050026
	s_add_u32 m0, 0x100, s49                                   // 000000005620: 807C31FF 00000100
	v_mfma_i32_16x16x32_i8 v[56:59], a[58:59], a[10:11], v[56:59]// 000000005628: D3D70038 1CE2153A
	v_mfma_i32_16x16x32_i8 v[56:59], a[60:61], a[12:13], v[56:59]// 000000005630: D3D70038 1CE2193C
	buffer_load_dword v39, s[20:23], 0 offen lds               // 000000005638: E0511000 80050027
	s_add_u32 m0, 0x200, s49                                   // 000000005640: 807C31FF 00000200
	v_mfma_i32_16x16x32_i8 v[56:59], a[62:63], a[14:15], v[56:59]// 000000005648: D3D70038 1CE21D3E
	buffer_load_dword v40, s[20:23], 0 offen lds               // 000000005650: E0511000 80050028
	s_add_u32 m0, 0x300, s49                                   // 000000005658: 807C31FF 00000300
	buffer_load_dword v41, s[20:23], 0 offen lds               // 000000005660: E0511000 80050029
	s_add_u32 m0, 0, s50                                       // 000000005668: 807C3280
	s_waitcnt vmcnt(8)                                         // 00000000566C: BF8C0F78
	s_barrier                                                  // 000000005670: BF8A0000
	v_mfma_i32_16x16x32_i8 v[60:63], a[64:65], a[0:1], v[60:63]// 000000005674: D3D7003C 1CF20140
	buffer_load_dwordx4 a[48:51], v42, s[84:87], 0 offen       // 00000000567C: E05C1000 8095302A
	v_mfma_i32_16x16x32_i8 v[60:63], a[66:67], a[2:3], v[60:63]// 000000005684: D3D7003C 1CF20542
	v_mfma_i32_16x16x32_i8 v[60:63], a[68:69], a[4:5], v[60:63]// 00000000568C: D3D7003C 1CF20944
	ds_read_b128 a[16:19], v2                                  // 000000005694: DBFE0000 10000002
	ds_read_b128 a[20:23], v2 offset:64                        // 00000000569C: DBFE0040 14000002
	v_mfma_i32_16x16x32_i8 v[60:63], a[70:71], a[6:7], v[60:63]// 0000000056A4: D3D7003C 1CF20D46
	v_mfma_i32_16x16x32_i8 v[68:71], a[72:73], a[0:1], v[68:71]// 0000000056AC: D3D70044 1D120148
	buffer_load_dwordx4 a[52:55], v42, s[84:87], 0 offen offset:1024// 0000000056B4: E05C1400 8095342A
	v_mfma_i32_16x16x32_i8 v[68:71], a[74:75], a[2:3], v[68:71]// 0000000056BC: D3D70044 1D12054A
	v_mfma_i32_16x16x32_i8 v[68:71], a[76:77], a[4:5], v[68:71]// 0000000056C4: D3D70044 1D12094C
	ds_read_b128 a[24:27], v2 offset:512                       // 0000000056CC: DBFE0200 18000002
	ds_read_b128 a[28:31], v2 offset:576                       // 0000000056D4: DBFE0240 1C000002
	v_mfma_i32_16x16x32_i8 v[68:71], a[78:79], a[6:7], v[68:71]// 0000000056DC: D3D70044 1D120D4E
	v_mfma_i32_16x16x32_i8 v[64:67], a[64:65], a[8:9], v[64:67]// 0000000056E4: D3D70040 1D021140
	buffer_load_dwordx4 a[56:59], v43, s[84:87], 0 offen       // 0000000056EC: E05C1000 8095382B
	s_add_u32 s60, 0x180, s80                                  // 0000000056F4: 803C50FF 00000180
	s_cmp_lt_u32 s60, s81                                      // 0000000056FC: BF0A513C
	s_cselect_b32 s57, s57, 0                                  // 000000005700: 85398039
	v_mfma_i32_16x16x32_i8 v[64:67], a[66:67], a[10:11], v[64:67]// 000000005704: D3D70040 1D021542
	s_add_u32 s60, 0x100, s80                                  // 00000000570C: 803C50FF 00000100
	s_cmp_lt_u32 s60, s81                                      // 000000005714: BF0A513C
	s_cselect_b32 s58, s58, 0                                  // 000000005718: 853A803A
	v_mfma_i32_16x16x32_i8 v[64:67], a[68:69], a[12:13], v[64:67]// 00000000571C: D3D70040 1D021944
	s_add_u32 s60, 0x100, s80                                  // 000000005724: 803C50FF 00000100
	s_cmp_lt_u32 s60, s81                                      // 00000000572C: BF0A513C
	s_cselect_b32 s83, s83, 0                                  // 000000005730: 85538053
	v_mfma_i32_16x16x32_i8 v[64:67], a[70:71], a[14:15], v[64:67]// 000000005734: D3D70040 1D021D46
	s_add_u32 s24, s58, s24                                    // 00000000573C: 8018183A
	s_addc_u32 s25, 0, s25                                     // 000000005740: 82191980
	v_mfma_i32_16x16x32_i8 v[72:75], a[72:73], a[8:9], v[72:75]// 000000005744: D3D70048 1D221148
	buffer_load_dwordx4 a[60:63], v43, s[84:87], 0 offen offset:1024// 00000000574C: E05C1400 80953C2B
	s_add_u32 s20, s57, s20                                    // 000000005754: 80141439
	s_addc_u32 s21, 0, s21                                     // 000000005758: 82151580
	v_mfma_i32_16x16x32_i8 v[72:75], a[74:75], a[10:11], v[72:75]// 00000000575C: D3D70048 1D22154A
	s_add_u32 s84, s83, s84                                    // 000000005764: 80545453
	s_addc_u32 s85, 0, s85                                     // 000000005768: 82555580
	v_mfma_i32_16x16x32_i8 v[72:75], a[76:77], a[12:13], v[72:75]// 00000000576C: D3D70048 1D22194C
	v_mfma_i32_16x16x32_i8 v[72:75], a[78:79], a[14:15], v[72:75]// 000000005774: D3D70048 1D221D4E
	s_addk_i32 s80, 0x80                                       // 00000000577C: B7500080
	s_cmp_lt_i32 s80, s81                                      // 000000005780: BF045150
	s_cbranch_scc0 label_0CE3                                  // 000000005784: BF84017E
	s_waitcnt vmcnt(8) lgkmcnt(0)                              // 000000005788: BF8C0078
	v_mfma_i32_16x16x32_i8 v[44:47], a[32:33], a[16:17], v[44:47]// 00000000578C: D3D7002C 1CB22120
	buffer_load_dwordx4 a[64:67], v42, s[24:27], 0 offen       // 000000005794: E05C1000 8086402A
	v_mfma_i32_16x16x32_i8 v[44:47], a[34:35], a[18:19], v[44:47]// 00000000579C: D3D7002C 1CB22522
	v_mfma_i32_16x16x32_i8 v[44:47], a[36:37], a[20:21], v[44:47]// 0000000057A4: D3D7002C 1CB22924
	v_mfma_i32_16x16x32_i8 v[44:47], a[38:39], a[22:23], v[44:47]// 0000000057AC: D3D7002C 1CB22D26
	v_mfma_i32_16x16x32_i8 v[52:55], a[40:41], a[16:17], v[52:55]// 0000000057B4: D3D70034 1CD22128
	buffer_load_dwordx4 a[68:71], v42, s[24:27], 0 offen offset:1024// 0000000057BC: E05C1400 8086442A
	v_mfma_i32_16x16x32_i8 v[52:55], a[42:43], a[18:19], v[52:55]// 0000000057C4: D3D70034 1CD2252A
	v_mfma_i32_16x16x32_i8 v[52:55], a[44:45], a[20:21], v[52:55]// 0000000057CC: D3D70034 1CD2292C
	v_mfma_i32_16x16x32_i8 v[52:55], a[46:47], a[22:23], v[52:55]// 0000000057D4: D3D70034 1CD22D2E
	v_mfma_i32_16x16x32_i8 v[48:51], a[32:33], a[24:25], v[48:51]// 0000000057DC: D3D70030 1CC23120
	buffer_load_dwordx4 a[72:75], v43, s[24:27], 0 offen       // 0000000057E4: E05C1000 8086482B
	v_mfma_i32_16x16x32_i8 v[48:51], a[34:35], a[26:27], v[48:51]// 0000000057EC: D3D70030 1CC23522
	v_mfma_i32_16x16x32_i8 v[48:51], a[36:37], a[28:29], v[48:51]// 0000000057F4: D3D70030 1CC23924
	v_mfma_i32_16x16x32_i8 v[48:51], a[38:39], a[30:31], v[48:51]// 0000000057FC: D3D70030 1CC23D26
	v_mfma_i32_16x16x32_i8 v[56:59], a[40:41], a[24:25], v[56:59]// 000000005804: D3D70038 1CE23128
	buffer_load_dwordx4 a[76:79], v43, s[24:27], 0 offen offset:1024// 00000000580C: E05C1400 80864C2B
	buffer_load_dword v38, s[20:23], 0 offen lds               // 000000005814: E0511000 80050026
	s_add_u32 m0, 0x100, s50                                   // 00000000581C: 807C32FF 00000100
	v_mfma_i32_16x16x32_i8 v[56:59], a[42:43], a[26:27], v[56:59]// 000000005824: D3D70038 1CE2352A
	v_mfma_i32_16x16x32_i8 v[56:59], a[44:45], a[28:29], v[56:59]// 00000000582C: D3D70038 1CE2392C
	buffer_load_dword v39, s[20:23], 0 offen lds               // 000000005834: E0511000 80050027
	s_add_u32 m0, 0x200, s50                                   // 00000000583C: 807C32FF 00000200
	v_mfma_i32_16x16x32_i8 v[56:59], a[46:47], a[30:31], v[56:59]// 000000005844: D3D70038 1CE23D2E
	buffer_load_dword v40, s[20:23], 0 offen lds               // 00000000584C: E0511000 80050028
	s_add_u32 m0, 0x300, s50                                   // 000000005854: 807C32FF 00000300
	buffer_load_dword v41, s[20:23], 0 offen lds               // 00000000585C: E0511000 80050029
	s_add_u32 m0, 0, s48                                       // 000000005864: 807C3080
	s_waitcnt vmcnt(8)                                         // 000000005868: BF8C0F78
	s_barrier                                                  // 00000000586C: BF8A0000
	v_mfma_i32_16x16x32_i8 v[60:63], a[48:49], a[16:17], v[60:63]// 000000005870: D3D7003C 1CF22130
	buffer_load_dwordx4 a[32:35], v42, s[84:87], 0 offen       // 000000005878: E05C1000 8095202A
	v_mfma_i32_16x16x32_i8 v[60:63], a[50:51], a[18:19], v[60:63]// 000000005880: D3D7003C 1CF22532
	v_mfma_i32_16x16x32_i8 v[60:63], a[52:53], a[20:21], v[60:63]// 000000005888: D3D7003C 1CF22934
	ds_read_b128 a[0:3], v2 offset:4224                        // 000000005890: DBFE1080 00000002
	ds_read_b128 a[4:7], v2 offset:4288                        // 000000005898: DBFE10C0 04000002
	v_mfma_i32_16x16x32_i8 v[60:63], a[54:55], a[22:23], v[60:63]// 0000000058A0: D3D7003C 1CF22D36
	v_mfma_i32_16x16x32_i8 v[68:71], a[56:57], a[16:17], v[68:71]// 0000000058A8: D3D70044 1D122138
	buffer_load_dwordx4 a[36:39], v42, s[84:87], 0 offen offset:1024// 0000000058B0: E05C1400 8095242A
	v_mfma_i32_16x16x32_i8 v[68:71], a[58:59], a[18:19], v[68:71]// 0000000058B8: D3D70044 1D12253A
	v_mfma_i32_16x16x32_i8 v[68:71], a[60:61], a[20:21], v[68:71]// 0000000058C0: D3D70044 1D12293C
	ds_read_b128 a[8:11], v2 offset:4736                       // 0000000058C8: DBFE1280 08000002
	ds_read_b128 a[12:15], v2 offset:4800                      // 0000000058D0: DBFE12C0 0C000002
	v_mfma_i32_16x16x32_i8 v[68:71], a[62:63], a[22:23], v[68:71]// 0000000058D8: D3D70044 1D122D3E
	v_mfma_i32_16x16x32_i8 v[64:67], a[48:49], a[24:25], v[64:67]// 0000000058E0: D3D70040 1D023130
	buffer_load_dwordx4 a[40:43], v43, s[84:87], 0 offen       // 0000000058E8: E05C1000 8095282B
	s_add_u32 s60, 0x180, s80                                  // 0000000058F0: 803C50FF 00000180
	s_cmp_lt_u32 s60, s81                                      // 0000000058F8: BF0A513C
	s_cselect_b32 s57, s57, 0                                  // 0000000058FC: 85398039
	v_mfma_i32_16x16x32_i8 v[64:67], a[50:51], a[26:27], v[64:67]// 000000005900: D3D70040 1D023532
	s_add_u32 s60, 0x100, s80                                  // 000000005908: 803C50FF 00000100
	s_cmp_lt_u32 s60, s81                                      // 000000005910: BF0A513C
	s_cselect_b32 s58, s58, 0                                  // 000000005914: 853A803A
	v_mfma_i32_16x16x32_i8 v[64:67], a[52:53], a[28:29], v[64:67]// 000000005918: D3D70040 1D023934
	s_add_u32 s60, 0x100, s80                                  // 000000005920: 803C50FF 00000100
	s_cmp_lt_u32 s60, s81                                      // 000000005928: BF0A513C
	s_cselect_b32 s83, s83, 0                                  // 00000000592C: 85538053
	v_mfma_i32_16x16x32_i8 v[64:67], a[54:55], a[30:31], v[64:67]// 000000005930: D3D70040 1D023D36
	s_add_u32 s24, s58, s24                                    // 000000005938: 8018183A
	s_addc_u32 s25, 0, s25                                     // 00000000593C: 82191980
	v_mfma_i32_16x16x32_i8 v[72:75], a[56:57], a[24:25], v[72:75]// 000000005940: D3D70048 1D223138
	buffer_load_dwordx4 a[44:47], v43, s[84:87], 0 offen offset:1024// 000000005948: E05C1400 80952C2B
	s_add_u32 s20, s57, s20                                    // 000000005950: 80141439
	s_addc_u32 s21, 0, s21                                     // 000000005954: 82151580
	v_mfma_i32_16x16x32_i8 v[72:75], a[58:59], a[26:27], v[72:75]// 000000005958: D3D70048 1D22353A
	s_add_u32 s84, s83, s84                                    // 000000005960: 80545453
	s_addc_u32 s85, 0, s85                                     // 000000005964: 82555580
	v_mfma_i32_16x16x32_i8 v[72:75], a[60:61], a[28:29], v[72:75]// 000000005968: D3D70048 1D22393C
	v_mfma_i32_16x16x32_i8 v[72:75], a[62:63], a[30:31], v[72:75]// 000000005970: D3D70048 1D223D3E
	s_addk_i32 s80, 0x80                                       // 000000005978: B7500080
	s_cmp_lt_i32 s80, s81                                      // 00000000597C: BF045150
	s_cbranch_scc0 label_0CE3                                  // 000000005980: BF8400FF
	s_waitcnt vmcnt(8) lgkmcnt(0)                              // 000000005984: BF8C0078
	v_mfma_i32_16x16x32_i8 v[44:47], a[64:65], a[0:1], v[44:47]// 000000005988: D3D7002C 1CB20140
	buffer_load_dwordx4 a[48:51], v42, s[24:27], 0 offen       // 000000005990: E05C1000 8086302A
	v_mfma_i32_16x16x32_i8 v[44:47], a[66:67], a[2:3], v[44:47]// 000000005998: D3D7002C 1CB20542
	v_mfma_i32_16x16x32_i8 v[44:47], a[68:69], a[4:5], v[44:47]// 0000000059A0: D3D7002C 1CB20944
	v_mfma_i32_16x16x32_i8 v[44:47], a[70:71], a[6:7], v[44:47]// 0000000059A8: D3D7002C 1CB20D46
	v_mfma_i32_16x16x32_i8 v[52:55], a[72:73], a[0:1], v[52:55]// 0000000059B0: D3D70034 1CD20148
	buffer_load_dwordx4 a[52:55], v42, s[24:27], 0 offen offset:1024// 0000000059B8: E05C1400 8086342A
	v_mfma_i32_16x16x32_i8 v[52:55], a[74:75], a[2:3], v[52:55]// 0000000059C0: D3D70034 1CD2054A
	v_mfma_i32_16x16x32_i8 v[52:55], a[76:77], a[4:5], v[52:55]// 0000000059C8: D3D70034 1CD2094C
	v_mfma_i32_16x16x32_i8 v[52:55], a[78:79], a[6:7], v[52:55]// 0000000059D0: D3D70034 1CD20D4E
	v_mfma_i32_16x16x32_i8 v[48:51], a[64:65], a[8:9], v[48:51]// 0000000059D8: D3D70030 1CC21140
	buffer_load_dwordx4 a[56:59], v43, s[24:27], 0 offen       // 0000000059E0: E05C1000 8086382B
	v_mfma_i32_16x16x32_i8 v[48:51], a[66:67], a[10:11], v[48:51]// 0000000059E8: D3D70030 1CC21542
	v_mfma_i32_16x16x32_i8 v[48:51], a[68:69], a[12:13], v[48:51]// 0000000059F0: D3D70030 1CC21944
	v_mfma_i32_16x16x32_i8 v[48:51], a[70:71], a[14:15], v[48:51]// 0000000059F8: D3D70030 1CC21D46
	v_mfma_i32_16x16x32_i8 v[56:59], a[72:73], a[8:9], v[56:59]// 000000005A00: D3D70038 1CE21148
	buffer_load_dwordx4 a[60:63], v43, s[24:27], 0 offen offset:1024// 000000005A08: E05C1400 80863C2B
	buffer_load_dword v38, s[20:23], 0 offen lds               // 000000005A10: E0511000 80050026
	s_add_u32 m0, 0x100, s48                                   // 000000005A18: 807C30FF 00000100
	v_mfma_i32_16x16x32_i8 v[56:59], a[74:75], a[10:11], v[56:59]// 000000005A20: D3D70038 1CE2154A
	v_mfma_i32_16x16x32_i8 v[56:59], a[76:77], a[12:13], v[56:59]// 000000005A28: D3D70038 1CE2194C
	buffer_load_dword v39, s[20:23], 0 offen lds               // 000000005A30: E0511000 80050027
	s_add_u32 m0, 0x200, s48                                   // 000000005A38: 807C30FF 00000200
	v_mfma_i32_16x16x32_i8 v[56:59], a[78:79], a[14:15], v[56:59]// 000000005A40: D3D70038 1CE21D4E
	buffer_load_dword v40, s[20:23], 0 offen lds               // 000000005A48: E0511000 80050028
	s_add_u32 m0, 0x300, s48                                   // 000000005A50: 807C30FF 00000300
	buffer_load_dword v41, s[20:23], 0 offen lds               // 000000005A58: E0511000 80050029
	s_add_u32 m0, 0, s49                                       // 000000005A60: 807C3180
	s_waitcnt vmcnt(8)                                         // 000000005A64: BF8C0F78
	s_barrier                                                  // 000000005A68: BF8A0000
	v_mfma_i32_16x16x32_i8 v[60:63], a[32:33], a[0:1], v[60:63]// 000000005A6C: D3D7003C 1CF20120
	buffer_load_dwordx4 a[64:67], v42, s[84:87], 0 offen       // 000000005A74: E05C1000 8095402A
	v_mfma_i32_16x16x32_i8 v[60:63], a[34:35], a[2:3], v[60:63]// 000000005A7C: D3D7003C 1CF20522
	v_mfma_i32_16x16x32_i8 v[60:63], a[36:37], a[4:5], v[60:63]// 000000005A84: D3D7003C 1CF20924
	ds_read_b128 a[16:19], v2 offset:8448                      // 000000005A8C: DBFE2100 10000002
	ds_read_b128 a[20:23], v2 offset:8512                      // 000000005A94: DBFE2140 14000002
	v_mfma_i32_16x16x32_i8 v[60:63], a[38:39], a[6:7], v[60:63]// 000000005A9C: D3D7003C 1CF20D26
	v_mfma_i32_16x16x32_i8 v[68:71], a[40:41], a[0:1], v[68:71]// 000000005AA4: D3D70044 1D120128
	buffer_load_dwordx4 a[68:71], v42, s[84:87], 0 offen offset:1024// 000000005AAC: E05C1400 8095442A
	v_mfma_i32_16x16x32_i8 v[68:71], a[42:43], a[2:3], v[68:71]// 000000005AB4: D3D70044 1D12052A
	v_mfma_i32_16x16x32_i8 v[68:71], a[44:45], a[4:5], v[68:71]// 000000005ABC: D3D70044 1D12092C
	ds_read_b128 a[24:27], v2 offset:8960                      // 000000005AC4: DBFE2300 18000002
	ds_read_b128 a[28:31], v2 offset:9024                      // 000000005ACC: DBFE2340 1C000002
	v_mfma_i32_16x16x32_i8 v[68:71], a[46:47], a[6:7], v[68:71]// 000000005AD4: D3D70044 1D120D2E
	v_mfma_i32_16x16x32_i8 v[64:67], a[32:33], a[8:9], v[64:67]// 000000005ADC: D3D70040 1D021120
	buffer_load_dwordx4 a[72:75], v43, s[84:87], 0 offen       // 000000005AE4: E05C1000 8095482B
	s_add_u32 s60, 0x180, s80                                  // 000000005AEC: 803C50FF 00000180
	s_cmp_lt_u32 s60, s81                                      // 000000005AF4: BF0A513C
	s_cselect_b32 s57, s57, 0                                  // 000000005AF8: 85398039
	v_mfma_i32_16x16x32_i8 v[64:67], a[34:35], a[10:11], v[64:67]// 000000005AFC: D3D70040 1D021522
	s_add_u32 s60, 0x100, s80                                  // 000000005B04: 803C50FF 00000100
	s_cmp_lt_u32 s60, s81                                      // 000000005B0C: BF0A513C
	s_cselect_b32 s58, s58, 0                                  // 000000005B10: 853A803A
	v_mfma_i32_16x16x32_i8 v[64:67], a[36:37], a[12:13], v[64:67]// 000000005B14: D3D70040 1D021924
	s_add_u32 s60, 0x100, s80                                  // 000000005B1C: 803C50FF 00000100
	s_cmp_lt_u32 s60, s81                                      // 000000005B24: BF0A513C
	s_cselect_b32 s83, s83, 0                                  // 000000005B28: 85538053
	v_mfma_i32_16x16x32_i8 v[64:67], a[38:39], a[14:15], v[64:67]// 000000005B2C: D3D70040 1D021D26
	s_add_u32 s24, s58, s24                                    // 000000005B34: 8018183A
	s_addc_u32 s25, 0, s25                                     // 000000005B38: 82191980
	v_mfma_i32_16x16x32_i8 v[72:75], a[40:41], a[8:9], v[72:75]// 000000005B3C: D3D70048 1D221128
	buffer_load_dwordx4 a[76:79], v43, s[84:87], 0 offen offset:1024// 000000005B44: E05C1400 80954C2B
	s_add_u32 s20, s57, s20                                    // 000000005B4C: 80141439
	s_addc_u32 s21, 0, s21                                     // 000000005B50: 82151580
	v_mfma_i32_16x16x32_i8 v[72:75], a[42:43], a[10:11], v[72:75]// 000000005B54: D3D70048 1D22152A
	s_add_u32 s84, s83, s84                                    // 000000005B5C: 80545453
	s_addc_u32 s85, 0, s85                                     // 000000005B60: 82555580
	v_mfma_i32_16x16x32_i8 v[72:75], a[44:45], a[12:13], v[72:75]// 000000005B64: D3D70048 1D22192C
	v_mfma_i32_16x16x32_i8 v[72:75], a[46:47], a[14:15], v[72:75]// 000000005B6C: D3D70048 1D221D2E
	s_addk_i32 s80, 0x80                                       // 000000005B74: B7500080
	s_cmp_lt_i32 s80, s81                                      // 000000005B78: BF045150
	s_cbranch_scc0 label_0CE3                                  // 000000005B7C: BF840080
	s_waitcnt vmcnt(8) lgkmcnt(0)                              // 000000005B80: BF8C0078
	v_mfma_i32_16x16x32_i8 v[44:47], a[48:49], a[16:17], v[44:47]// 000000005B84: D3D7002C 1CB22130
	buffer_load_dwordx4 a[32:35], v42, s[24:27], 0 offen       // 000000005B8C: E05C1000 8086202A
	v_mfma_i32_16x16x32_i8 v[44:47], a[50:51], a[18:19], v[44:47]// 000000005B94: D3D7002C 1CB22532
	v_mfma_i32_16x16x32_i8 v[44:47], a[52:53], a[20:21], v[44:47]// 000000005B9C: D3D7002C 1CB22934
	v_mfma_i32_16x16x32_i8 v[44:47], a[54:55], a[22:23], v[44:47]// 000000005BA4: D3D7002C 1CB22D36
	v_mfma_i32_16x16x32_i8 v[52:55], a[56:57], a[16:17], v[52:55]// 000000005BAC: D3D70034 1CD22138
	buffer_load_dwordx4 a[36:39], v42, s[24:27], 0 offen offset:1024// 000000005BB4: E05C1400 8086242A
	v_mfma_i32_16x16x32_i8 v[52:55], a[58:59], a[18:19], v[52:55]// 000000005BBC: D3D70034 1CD2253A
	v_mfma_i32_16x16x32_i8 v[52:55], a[60:61], a[20:21], v[52:55]// 000000005BC4: D3D70034 1CD2293C
	v_mfma_i32_16x16x32_i8 v[52:55], a[62:63], a[22:23], v[52:55]// 000000005BCC: D3D70034 1CD22D3E
	v_mfma_i32_16x16x32_i8 v[48:51], a[48:49], a[24:25], v[48:51]// 000000005BD4: D3D70030 1CC23130
	buffer_load_dwordx4 a[40:43], v43, s[24:27], 0 offen       // 000000005BDC: E05C1000 8086282B
	v_mfma_i32_16x16x32_i8 v[48:51], a[50:51], a[26:27], v[48:51]// 000000005BE4: D3D70030 1CC23532
	v_mfma_i32_16x16x32_i8 v[48:51], a[52:53], a[28:29], v[48:51]// 000000005BEC: D3D70030 1CC23934
	v_mfma_i32_16x16x32_i8 v[48:51], a[54:55], a[30:31], v[48:51]// 000000005BF4: D3D70030 1CC23D36
	v_mfma_i32_16x16x32_i8 v[56:59], a[56:57], a[24:25], v[56:59]// 000000005BFC: D3D70038 1CE23138
	buffer_load_dwordx4 a[44:47], v43, s[24:27], 0 offen offset:1024// 000000005C04: E05C1400 80862C2B
	buffer_load_dword v38, s[20:23], 0 offen lds               // 000000005C0C: E0511000 80050026
	s_add_u32 m0, 0x100, s49                                   // 000000005C14: 807C31FF 00000100
	v_mfma_i32_16x16x32_i8 v[56:59], a[58:59], a[26:27], v[56:59]// 000000005C1C: D3D70038 1CE2353A
	v_mfma_i32_16x16x32_i8 v[56:59], a[60:61], a[28:29], v[56:59]// 000000005C24: D3D70038 1CE2393C
	buffer_load_dword v39, s[20:23], 0 offen lds               // 000000005C2C: E0511000 80050027
	s_add_u32 m0, 0x200, s49                                   // 000000005C34: 807C31FF 00000200
	v_mfma_i32_16x16x32_i8 v[56:59], a[62:63], a[30:31], v[56:59]// 000000005C3C: D3D70038 1CE23D3E
	buffer_load_dword v40, s[20:23], 0 offen lds               // 000000005C44: E0511000 80050028
	s_add_u32 m0, 0x300, s49                                   // 000000005C4C: 807C31FF 00000300
	buffer_load_dword v41, s[20:23], 0 offen lds               // 000000005C54: E0511000 80050029
	s_add_u32 m0, 0, s50                                       // 000000005C5C: 807C3280
	s_waitcnt vmcnt(8)                                         // 000000005C60: BF8C0F78
	s_barrier                                                  // 000000005C64: BF8A0000
	v_mfma_i32_16x16x32_i8 v[60:63], a[64:65], a[16:17], v[60:63]// 000000005C68: D3D7003C 1CF22140
	buffer_load_dwordx4 a[48:51], v42, s[84:87], 0 offen       // 000000005C70: E05C1000 8095302A
	v_mfma_i32_16x16x32_i8 v[60:63], a[66:67], a[18:19], v[60:63]// 000000005C78: D3D7003C 1CF22542
	v_mfma_i32_16x16x32_i8 v[60:63], a[68:69], a[20:21], v[60:63]// 000000005C80: D3D7003C 1CF22944
	ds_read_b128 a[0:3], v2                                    // 000000005C88: DBFE0000 00000002
	ds_read_b128 a[4:7], v2 offset:64                          // 000000005C90: DBFE0040 04000002
	v_mfma_i32_16x16x32_i8 v[60:63], a[70:71], a[22:23], v[60:63]// 000000005C98: D3D7003C 1CF22D46
	v_mfma_i32_16x16x32_i8 v[68:71], a[72:73], a[16:17], v[68:71]// 000000005CA0: D3D70044 1D122148
	buffer_load_dwordx4 a[52:55], v42, s[84:87], 0 offen offset:1024// 000000005CA8: E05C1400 8095342A
	v_mfma_i32_16x16x32_i8 v[68:71], a[74:75], a[18:19], v[68:71]// 000000005CB0: D3D70044 1D12254A
	v_mfma_i32_16x16x32_i8 v[68:71], a[76:77], a[20:21], v[68:71]// 000000005CB8: D3D70044 1D12294C
	ds_read_b128 a[8:11], v2 offset:512                        // 000000005CC0: DBFE0200 08000002
	ds_read_b128 a[12:15], v2 offset:576                       // 000000005CC8: DBFE0240 0C000002
	v_mfma_i32_16x16x32_i8 v[68:71], a[78:79], a[22:23], v[68:71]// 000000005CD0: D3D70044 1D122D4E
	v_mfma_i32_16x16x32_i8 v[64:67], a[64:65], a[24:25], v[64:67]// 000000005CD8: D3D70040 1D023140
	buffer_load_dwordx4 a[56:59], v43, s[84:87], 0 offen       // 000000005CE0: E05C1000 8095382B
	s_add_u32 s60, 0x180, s80                                  // 000000005CE8: 803C50FF 00000180
	s_cmp_lt_u32 s60, s81                                      // 000000005CF0: BF0A513C
	s_cselect_b32 s57, s57, 0                                  // 000000005CF4: 85398039
	v_mfma_i32_16x16x32_i8 v[64:67], a[66:67], a[26:27], v[64:67]// 000000005CF8: D3D70040 1D023542
	s_add_u32 s60, 0x100, s80                                  // 000000005D00: 803C50FF 00000100
	s_cmp_lt_u32 s60, s81                                      // 000000005D08: BF0A513C
	s_cselect_b32 s58, s58, 0                                  // 000000005D0C: 853A803A
	v_mfma_i32_16x16x32_i8 v[64:67], a[68:69], a[28:29], v[64:67]// 000000005D10: D3D70040 1D023944
	s_add_u32 s60, 0x100, s80                                  // 000000005D18: 803C50FF 00000100
	s_cmp_lt_u32 s60, s81                                      // 000000005D20: BF0A513C
	s_cselect_b32 s83, s83, 0                                  // 000000005D24: 85538053
	v_mfma_i32_16x16x32_i8 v[64:67], a[70:71], a[30:31], v[64:67]// 000000005D28: D3D70040 1D023D46
	s_add_u32 s24, s58, s24                                    // 000000005D30: 8018183A
	s_addc_u32 s25, 0, s25                                     // 000000005D34: 82191980
	v_mfma_i32_16x16x32_i8 v[72:75], a[72:73], a[24:25], v[72:75]// 000000005D38: D3D70048 1D223148
	buffer_load_dwordx4 a[60:63], v43, s[84:87], 0 offen offset:1024// 000000005D40: E05C1400 80953C2B
	s_add_u32 s20, s57, s20                                    // 000000005D48: 80141439
	s_addc_u32 s21, 0, s21                                     // 000000005D4C: 82151580
	v_mfma_i32_16x16x32_i8 v[72:75], a[74:75], a[26:27], v[72:75]// 000000005D50: D3D70048 1D22354A
	s_add_u32 s84, s83, s84                                    // 000000005D58: 80545453
	s_addc_u32 s85, 0, s85                                     // 000000005D5C: 82555580
	v_mfma_i32_16x16x32_i8 v[72:75], a[76:77], a[28:29], v[72:75]// 000000005D60: D3D70048 1D22394C
	v_mfma_i32_16x16x32_i8 v[72:75], a[78:79], a[30:31], v[72:75]// 000000005D68: D3D70048 1D223D4E
	s_addk_i32 s80, 0x80                                       // 000000005D70: B7500080
	s_cmp_lt_i32 s80, s81                                      // 000000005D74: BF045150
	s_cbranch_scc0 label_0CE3                                  // 000000005D78: BF840001
	s_branch label_09E8                                        // 000000005D7C: BF82FD05

0000000000005d80 <label_0CE3>:
	v_cvt_f32_i32_e32 v44, v44                                 // 000000005D80: 7E580B2C
	v_cvt_f32_i32_e32 v45, v45                                 // 000000005D84: 7E5A0B2D
	v_cvt_f32_i32_e32 v46, v46                                 // 000000005D88: 7E5C0B2E
	v_cvt_f32_i32_e32 v47, v47                                 // 000000005D8C: 7E5E0B2F
	v_mul_f32_dpp v44, v24, v44 row_newbcast:0 row_mask:0xf bank_mask:0xf// 000000005D90: 0A5858FA FF015018
	v_mul_f32_dpp v45, v24, v45 row_newbcast:1 row_mask:0xf bank_mask:0xf// 000000005D98: 0A5A5AFA FF015118
	v_mul_f32_dpp v46, v24, v46 row_newbcast:2 row_mask:0xf bank_mask:0xf// 000000005DA0: 0A5C5CFA FF015218
	v_mul_f32_dpp v47, v24, v47 row_newbcast:3 row_mask:0xf bank_mask:0xf// 000000005DA8: 0A5E5EFA FF015318
	v_cvt_f32_i32_e32 v48, v48                                 // 000000005DB0: 7E600B30
	v_cvt_f32_i32_e32 v49, v49                                 // 000000005DB4: 7E620B31
	v_cvt_f32_i32_e32 v50, v50                                 // 000000005DB8: 7E640B32
	v_cvt_f32_i32_e32 v51, v51                                 // 000000005DBC: 7E660B33
	v_mul_f32_dpp v48, v24, v48 row_newbcast:0 row_mask:0xf bank_mask:0xf// 000000005DC0: 0A6060FA FF015018
	v_mul_f32_dpp v49, v24, v49 row_newbcast:1 row_mask:0xf bank_mask:0xf// 000000005DC8: 0A6262FA FF015118
	v_mul_f32_dpp v50, v24, v50 row_newbcast:2 row_mask:0xf bank_mask:0xf// 000000005DD0: 0A6464FA FF015218
	v_mul_f32_dpp v51, v24, v51 row_newbcast:3 row_mask:0xf bank_mask:0xf// 000000005DD8: 0A6666FA FF015318
	v_cvt_f32_i32_e32 v52, v52                                 // 000000005DE0: 7E680B34
	v_cvt_f32_i32_e32 v53, v53                                 // 000000005DE4: 7E6A0B35
	v_cvt_f32_i32_e32 v54, v54                                 // 000000005DE8: 7E6C0B36
	v_cvt_f32_i32_e32 v55, v55                                 // 000000005DEC: 7E6E0B37
	v_mul_f32_dpp v52, v24, v52 row_newbcast:4 row_mask:0xf bank_mask:0xf// 000000005DF0: 0A6868FA FF015418
	v_mul_f32_dpp v53, v24, v53 row_newbcast:5 row_mask:0xf bank_mask:0xf// 000000005DF8: 0A6A6AFA FF015518
	v_mul_f32_dpp v54, v24, v54 row_newbcast:6 row_mask:0xf bank_mask:0xf// 000000005E00: 0A6C6CFA FF015618
	v_mul_f32_dpp v55, v24, v55 row_newbcast:7 row_mask:0xf bank_mask:0xf// 000000005E08: 0A6E6EFA FF015718
	v_cvt_f32_i32_e32 v56, v56                                 // 000000005E10: 7E700B38
	v_cvt_f32_i32_e32 v57, v57                                 // 000000005E14: 7E720B39
	v_cvt_f32_i32_e32 v58, v58                                 // 000000005E18: 7E740B3A
	v_cvt_f32_i32_e32 v59, v59                                 // 000000005E1C: 7E760B3B
	v_mul_f32_dpp v56, v24, v56 row_newbcast:4 row_mask:0xf bank_mask:0xf// 000000005E20: 0A7070FA FF015418
	v_mul_f32_dpp v57, v24, v57 row_newbcast:5 row_mask:0xf bank_mask:0xf// 000000005E28: 0A7272FA FF015518
	v_mul_f32_dpp v58, v24, v58 row_newbcast:6 row_mask:0xf bank_mask:0xf// 000000005E30: 0A7474FA FF015618
	v_mul_f32_dpp v59, v24, v59 row_newbcast:7 row_mask:0xf bank_mask:0xf// 000000005E38: 0A7676FA FF015718
	v_cvt_f32_i32_e32 v60, v60                                 // 000000005E40: 7E780B3C
	v_cvt_f32_i32_e32 v61, v61                                 // 000000005E44: 7E7A0B3D
	v_cvt_f32_i32_e32 v62, v62                                 // 000000005E48: 7E7C0B3E
	v_cvt_f32_i32_e32 v63, v63                                 // 000000005E4C: 7E7E0B3F
	v_mul_f32_dpp v60, v27, v60 row_newbcast:0 row_mask:0xf bank_mask:0xf// 000000005E50: 0A7878FA FF01501B
	v_mul_f32_dpp v61, v27, v61 row_newbcast:1 row_mask:0xf bank_mask:0xf// 000000005E58: 0A7A7AFA FF01511B
	v_mul_f32_dpp v62, v27, v62 row_newbcast:2 row_mask:0xf bank_mask:0xf// 000000005E60: 0A7C7CFA FF01521B
	v_mul_f32_dpp v63, v27, v63 row_newbcast:3 row_mask:0xf bank_mask:0xf// 000000005E68: 0A7E7EFA FF01531B
	v_cvt_f32_i32_e32 v64, v64                                 // 000000005E70: 7E800B40
	v_cvt_f32_i32_e32 v65, v65                                 // 000000005E74: 7E820B41
	v_cvt_f32_i32_e32 v66, v66                                 // 000000005E78: 7E840B42
	v_cvt_f32_i32_e32 v67, v67                                 // 000000005E7C: 7E860B43
	v_mul_f32_dpp v64, v27, v64 row_newbcast:0 row_mask:0xf bank_mask:0xf// 000000005E80: 0A8080FA FF01501B
	v_mul_f32_dpp v65, v27, v65 row_newbcast:1 row_mask:0xf bank_mask:0xf// 000000005E88: 0A8282FA FF01511B
	v_mul_f32_dpp v66, v27, v66 row_newbcast:2 row_mask:0xf bank_mask:0xf// 000000005E90: 0A8484FA FF01521B
	v_mul_f32_dpp v67, v27, v67 row_newbcast:3 row_mask:0xf bank_mask:0xf// 000000005E98: 0A8686FA FF01531B
	v_cvt_f32_i32_e32 v68, v68                                 // 000000005EA0: 7E880B44
	v_cvt_f32_i32_e32 v69, v69                                 // 000000005EA4: 7E8A0B45
	v_cvt_f32_i32_e32 v70, v70                                 // 000000005EA8: 7E8C0B46
	v_cvt_f32_i32_e32 v71, v71                                 // 000000005EAC: 7E8E0B47
	v_mul_f32_dpp v68, v27, v68 row_newbcast:4 row_mask:0xf bank_mask:0xf// 000000005EB0: 0A8888FA FF01541B
	v_mul_f32_dpp v69, v27, v69 row_newbcast:5 row_mask:0xf bank_mask:0xf// 000000005EB8: 0A8A8AFA FF01551B
	v_mul_f32_dpp v70, v27, v70 row_newbcast:6 row_mask:0xf bank_mask:0xf// 000000005EC0: 0A8C8CFA FF01561B
	v_mul_f32_dpp v71, v27, v71 row_newbcast:7 row_mask:0xf bank_mask:0xf// 000000005EC8: 0A8E8EFA FF01571B
	v_cvt_f32_i32_e32 v72, v72                                 // 000000005ED0: 7E900B48
	v_cvt_f32_i32_e32 v73, v73                                 // 000000005ED4: 7E920B49
	v_cvt_f32_i32_e32 v74, v74                                 // 000000005ED8: 7E940B4A
	v_cvt_f32_i32_e32 v75, v75                                 // 000000005EDC: 7E960B4B
	v_mul_f32_dpp v72, v27, v72 row_newbcast:4 row_mask:0xf bank_mask:0xf// 000000005EE0: 0A9090FA FF01541B
	v_mul_f32_dpp v73, v27, v73 row_newbcast:5 row_mask:0xf bank_mask:0xf// 000000005EE8: 0A9292FA FF01551B
	v_mul_f32_dpp v74, v27, v74 row_newbcast:6 row_mask:0xf bank_mask:0xf// 000000005EF0: 0A9494FA FF01561B
	v_mul_f32_dpp v75, v27, v75 row_newbcast:7 row_mask:0xf bank_mask:0xf// 000000005EF8: 0A9696FA FF01571B
	v_mov_b32_e32 v4, v32                                      // 000000005F00: 7E080320
	v_mov_b32_e32 v5, v4                                       // 000000005F04: 7E0A0304
	v_pk_mul_f32 v[44:45], v[4:5], v[44:45]                    // 000000005F08: D3B1402C 18025904
	v_pk_mul_f32 v[60:61], v[4:5], v[60:61]                    // 000000005F10: D3B1403C 18027904
	v_pk_mul_f32 v[46:47], v[4:5], v[46:47]                    // 000000005F18: D3B1402E 18025D04
	v_pk_mul_f32 v[62:63], v[4:5], v[62:63]                    // 000000005F20: D3B1403E 18027D04
	v_pk_mul_f32 v[52:53], v[4:5], v[52:53]                    // 000000005F28: D3B14034 18026904
	v_pk_mul_f32 v[68:69], v[4:5], v[68:69]                    // 000000005F30: D3B14044 18028904
	v_pk_mul_f32 v[54:55], v[4:5], v[54:55]                    // 000000005F38: D3B14036 18026D04
	v_pk_mul_f32 v[70:71], v[4:5], v[70:71]                    // 000000005F40: D3B14046 18028D04
	v_mov_b32_e32 v4, v33                                      // 000000005F48: 7E080321
	v_mov_b32_e32 v5, v4                                       // 000000005F4C: 7E0A0304
	v_pk_mul_f32 v[48:49], v[4:5], v[48:49]                    // 000000005F50: D3B14030 18026104
	v_pk_mul_f32 v[64:65], v[4:5], v[64:65]                    // 000000005F58: D3B14040 18028104
	v_pk_mul_f32 v[50:51], v[4:5], v[50:51]                    // 000000005F60: D3B14032 18026504
	v_pk_mul_f32 v[66:67], v[4:5], v[66:67]                    // 000000005F68: D3B14042 18028504
	v_pk_mul_f32 v[56:57], v[4:5], v[56:57]                    // 000000005F70: D3B14038 18027104
	v_pk_mul_f32 v[72:73], v[4:5], v[72:73]                    // 000000005F78: D3B14048 18029104
	v_pk_mul_f32 v[58:59], v[4:5], v[58:59]                    // 000000005F80: D3B1403A 18027504
	v_pk_mul_f32 v[74:75], v[4:5], v[74:75]                    // 000000005F88: D3B1404A 18029504
	s_cmp_eq_u32 s88, 0                                        // 000000005F90: BF068058
	s_cbranch_scc0 label_0FDA                                  // 000000005F94: BF840271
	s_cmp_eq_u32 s89, 0                                        // 000000005F98: BF068059
	s_cbranch_scc1 label_0E10                                  // 000000005F9C: BF8500A5
	v_mov_b32_e32 v8, v1                                       // 000000005FA0: 7E100301
	v_mov_b32_e32 v9, v1                                       // 000000005FA4: 7E120301
	s_mov_b32 s60, s6                                          // 000000005FA8: BEBC0006
	s_mov_b32 s61, s6                                          // 000000005FAC: BEBD0006
	v_pk_mul_f32 v[4:5], v[44:45], v[44:45]                    // 000000005FB0: D3B14004 1802592C
	v_pk_mul_f32 v[6:7], v[46:47], v[46:47]                    // 000000005FB8: D3B14006 18025D2E
	v_pk_fma_f32 v[4:5], v[4:5], s[78:79], v[8:9]              // 000000005FC0: D3B04004 1C209D04
	v_pk_fma_f32 v[6:7], v[6:7], s[78:79], v[8:9]              // 000000005FC8: D3B04006 1C209D06
	v_pk_mul_f32 v[4:5], v[4:5], v[44:45]                      // 000000005FD0: D3B14004 18025904
	v_pk_mul_f32 v[6:7], v[6:7], v[46:47]                      // 000000005FD8: D3B14006 18025D06
	v_pk_mul_f32 v[4:5], v[4:5], s[60:61]                      // 000000005FE0: D3B14004 18007904
	v_pk_mul_f32 v[6:7], v[6:7], s[60:61]                      // 000000005FE8: D3B14006 18007906
	v_exp_f32_e32 v4, v4                                       // 000000005FF0: 7E084104
	v_exp_f32_e32 v5, v5                                       // 000000005FF4: 7E0A4105
	v_exp_f32_e32 v6, v6                                       // 000000005FF8: 7E0C4106
	v_exp_f32_e32 v7, v7                                       // 000000005FFC: 7E0E4107
	v_add_f32_e64 v4, v4, 1.0                                  // 000000006000: D1010004 0001E504
	v_add_f32_e64 v5, v5, 1.0                                  // 000000006008: D1010005 0001E505
	v_add_f32_e64 v6, v6, 1.0                                  // 000000006010: D1010006 0001E506
	v_add_f32_e64 v7, v7, 1.0                                  // 000000006018: D1010007 0001E507
	v_rcp_f32_e32 v4, v4                                       // 000000006020: 7E084504
	v_rcp_f32_e32 v5, v5                                       // 000000006024: 7E0A4505
	v_rcp_f32_e32 v6, v6                                       // 000000006028: 7E0C4506
	v_rcp_f32_e32 v7, v7                                       // 00000000602C: 7E0E4507
	v_mul_f32_e32 v44, v44, v4                                 // 000000006030: 0A58092C
	v_mul_f32_e32 v45, v45, v5                                 // 000000006034: 0A5A0B2D
	v_mul_f32_e32 v46, v46, v6                                 // 000000006038: 0A5C0D2E
	v_mul_f32_e32 v47, v47, v7                                 // 00000000603C: 0A5E0F2F
	v_mul_f32_e32 v44, v44, v60                                // 000000006040: 0A58792C
	v_mul_f32_e32 v45, v45, v61                                // 000000006044: 0A5A7B2D
	v_mul_f32_e32 v46, v46, v62                                // 000000006048: 0A5C7D2E
	v_mul_f32_e32 v47, v47, v63                                // 00000000604C: 0A5E7F2F
	v_pk_mul_f32 v[4:5], v[48:49], v[48:49]                    // 000000006050: D3B14004 18026130
	v_pk_mul_f32 v[6:7], v[50:51], v[50:51]                    // 000000006058: D3B14006 18026532
	v_pk_fma_f32 v[4:5], v[4:5], s[78:79], v[8:9]              // 000000006060: D3B04004 1C209D04
	v_pk_fma_f32 v[6:7], v[6:7], s[78:79], v[8:9]              // 000000006068: D3B04006 1C209D06
	v_pk_mul_f32 v[4:5], v[4:5], v[48:49]                      // 000000006070: D3B14004 18026104
	v_pk_mul_f32 v[6:7], v[6:7], v[50:51]                      // 000000006078: D3B14006 18026506
	v_pk_mul_f32 v[4:5], v[4:5], s[60:61]                      // 000000006080: D3B14004 18007904
	v_pk_mul_f32 v[6:7], v[6:7], s[60:61]                      // 000000006088: D3B14006 18007906
	v_exp_f32_e32 v4, v4                                       // 000000006090: 7E084104
	v_exp_f32_e32 v5, v5                                       // 000000006094: 7E0A4105
	v_exp_f32_e32 v6, v6                                       // 000000006098: 7E0C4106
	v_exp_f32_e32 v7, v7                                       // 00000000609C: 7E0E4107
	v_add_f32_e64 v4, v4, 1.0                                  // 0000000060A0: D1010004 0001E504
	v_add_f32_e64 v5, v5, 1.0                                  // 0000000060A8: D1010005 0001E505
	v_add_f32_e64 v6, v6, 1.0                                  // 0000000060B0: D1010006 0001E506
	v_add_f32_e64 v7, v7, 1.0                                  // 0000000060B8: D1010007 0001E507
	v_rcp_f32_e32 v4, v4                                       // 0000000060C0: 7E084504
	v_rcp_f32_e32 v5, v5                                       // 0000000060C4: 7E0A4505
	v_rcp_f32_e32 v6, v6                                       // 0000000060C8: 7E0C4506
	v_rcp_f32_e32 v7, v7                                       // 0000000060CC: 7E0E4507
	v_mul_f32_e32 v48, v48, v4                                 // 0000000060D0: 0A600930
	v_mul_f32_e32 v49, v49, v5                                 // 0000000060D4: 0A620B31
	v_mul_f32_e32 v50, v50, v6                                 // 0000000060D8: 0A640D32
	v_mul_f32_e32 v51, v51, v7                                 // 0000000060DC: 0A660F33
	v_mul_f32_e32 v48, v48, v64                                // 0000000060E0: 0A608130
	v_mul_f32_e32 v49, v49, v65                                // 0000000060E4: 0A628331
	v_mul_f32_e32 v50, v50, v66                                // 0000000060E8: 0A648532
	v_mul_f32_e32 v51, v51, v67                                // 0000000060EC: 0A668733
	v_pk_mul_f32 v[4:5], v[52:53], v[52:53]                    // 0000000060F0: D3B14004 18026934
	v_pk_mul_f32 v[6:7], v[54:55], v[54:55]                    // 0000000060F8: D3B14006 18026D36
	v_pk_fma_f32 v[4:5], v[4:5], s[78:79], v[8:9]              // 000000006100: D3B04004 1C209D04
	v_pk_fma_f32 v[6:7], v[6:7], s[78:79], v[8:9]              // 000000006108: D3B04006 1C209D06
	v_pk_mul_f32 v[4:5], v[4:5], v[52:53]                      // 000000006110: D3B14004 18026904
	v_pk_mul_f32 v[6:7], v[6:7], v[54:55]                      // 000000006118: D3B14006 18026D06
	v_pk_mul_f32 v[4:5], v[4:5], s[60:61]                      // 000000006120: D3B14004 18007904
	v_pk_mul_f32 v[6:7], v[6:7], s[60:61]                      // 000000006128: D3B14006 18007906
	v_exp_f32_e32 v4, v4                                       // 000000006130: 7E084104
	v_exp_f32_e32 v5, v5                                       // 000000006134: 7E0A4105
	v_exp_f32_e32 v6, v6                                       // 000000006138: 7E0C4106
	v_exp_f32_e32 v7, v7                                       // 00000000613C: 7E0E4107
	v_add_f32_e64 v4, v4, 1.0                                  // 000000006140: D1010004 0001E504
	v_add_f32_e64 v5, v5, 1.0                                  // 000000006148: D1010005 0001E505
	v_add_f32_e64 v6, v6, 1.0                                  // 000000006150: D1010006 0001E506
	v_add_f32_e64 v7, v7, 1.0                                  // 000000006158: D1010007 0001E507
	v_rcp_f32_e32 v4, v4                                       // 000000006160: 7E084504
	v_rcp_f32_e32 v5, v5                                       // 000000006164: 7E0A4505
	v_rcp_f32_e32 v6, v6                                       // 000000006168: 7E0C4506
	v_rcp_f32_e32 v7, v7                                       // 00000000616C: 7E0E4507
	v_mul_f32_e32 v52, v52, v4                                 // 000000006170: 0A680934
	v_mul_f32_e32 v53, v53, v5                                 // 000000006174: 0A6A0B35
	v_mul_f32_e32 v54, v54, v6                                 // 000000006178: 0A6C0D36
	v_mul_f32_e32 v55, v55, v7                                 // 00000000617C: 0A6E0F37
	v_mul_f32_e32 v52, v52, v68                                // 000000006180: 0A688934
	v_mul_f32_e32 v53, v53, v69                                // 000000006184: 0A6A8B35
	v_mul_f32_e32 v54, v54, v70                                // 000000006188: 0A6C8D36
	v_mul_f32_e32 v55, v55, v71                                // 00000000618C: 0A6E8F37
	v_pk_mul_f32 v[4:5], v[56:57], v[56:57]                    // 000000006190: D3B14004 18027138
	v_pk_mul_f32 v[6:7], v[58:59], v[58:59]                    // 000000006198: D3B14006 1802753A
	v_pk_fma_f32 v[4:5], v[4:5], s[78:79], v[8:9]              // 0000000061A0: D3B04004 1C209D04
	v_pk_fma_f32 v[6:7], v[6:7], s[78:79], v[8:9]              // 0000000061A8: D3B04006 1C209D06
	v_pk_mul_f32 v[4:5], v[4:5], v[56:57]                      // 0000000061B0: D3B14004 18027104
	v_pk_mul_f32 v[6:7], v[6:7], v[58:59]                      // 0000000061B8: D3B14006 18027506
	v_pk_mul_f32 v[4:5], v[4:5], s[60:61]                      // 0000000061C0: D3B14004 18007904
	v_pk_mul_f32 v[6:7], v[6:7], s[60:61]                      // 0000000061C8: D3B14006 18007906
	v_exp_f32_e32 v4, v4                                       // 0000000061D0: 7E084104
	v_exp_f32_e32 v5, v5                                       // 0000000061D4: 7E0A4105
	v_exp_f32_e32 v6, v6                                       // 0000000061D8: 7E0C4106
	v_exp_f32_e32 v7, v7                                       // 0000000061DC: 7E0E4107
	v_add_f32_e64 v4, v4, 1.0                                  // 0000000061E0: D1010004 0001E504
	v_add_f32_e64 v5, v5, 1.0                                  // 0000000061E8: D1010005 0001E505
	v_add_f32_e64 v6, v6, 1.0                                  // 0000000061F0: D1010006 0001E506
	v_add_f32_e64 v7, v7, 1.0                                  // 0000000061F8: D1010007 0001E507
	v_rcp_f32_e32 v4, v4                                       // 000000006200: 7E084504
	v_rcp_f32_e32 v5, v5                                       // 000000006204: 7E0A4505
	v_rcp_f32_e32 v6, v6                                       // 000000006208: 7E0C4506
	v_rcp_f32_e32 v7, v7                                       // 00000000620C: 7E0E4507
	v_mul_f32_e32 v56, v56, v4                                 // 000000006210: 0A700938
	v_mul_f32_e32 v57, v57, v5                                 // 000000006214: 0A720B39
	v_mul_f32_e32 v58, v58, v6                                 // 000000006218: 0A740D3A
	v_mul_f32_e32 v59, v59, v7                                 // 00000000621C: 0A760F3B
	v_mul_f32_e32 v56, v56, v72                                // 000000006220: 0A709138
	v_mul_f32_e32 v57, v57, v73                                // 000000006224: 0A729339
	v_mul_f32_e32 v58, v58, v74                                // 000000006228: 0A74953A
	v_mul_f32_e32 v59, v59, v75                                // 00000000622C: 0A76973B
	s_branch label_0E90                                        // 000000006230: BF820080

0000000000006234 <label_0E10>:
	v_mul_f32_e64 v4, -v44, s6                                 // 000000006234: D1050004 20000D2C
	v_mul_f32_e64 v5, -v45, s6                                 // 00000000623C: D1050005 20000D2D
	v_mul_f32_e64 v6, -v46, s6                                 // 000000006244: D1050006 20000D2E
	v_mul_f32_e64 v7, -v47, s6                                 // 00000000624C: D1050007 20000D2F
	v_exp_f32_e32 v4, v4                                       // 000000006254: 7E084104
	v_exp_f32_e32 v5, v5                                       // 000000006258: 7E0A4105
	v_exp_f32_e32 v6, v6                                       // 00000000625C: 7E0C4106
	v_exp_f32_e32 v7, v7                                       // 000000006260: 7E0E4107
	v_add_f32_e64 v4, v4, 1.0                                  // 000000006264: D1010004 0001E504
	v_add_f32_e64 v5, v5, 1.0                                  // 00000000626C: D1010005 0001E505
	v_add_f32_e64 v6, v6, 1.0                                  // 000000006274: D1010006 0001E506
	v_add_f32_e64 v7, v7, 1.0                                  // 00000000627C: D1010007 0001E507
	v_rcp_f32_e32 v4, v4                                       // 000000006284: 7E084504
	v_rcp_f32_e32 v5, v5                                       // 000000006288: 7E0A4505
	v_rcp_f32_e32 v6, v6                                       // 00000000628C: 7E0C4506
	v_rcp_f32_e32 v7, v7                                       // 000000006290: 7E0E4507
	v_mul_f32_e32 v44, v44, v4                                 // 000000006294: 0A58092C
	v_mul_f32_e32 v45, v45, v5                                 // 000000006298: 0A5A0B2D
	v_mul_f32_e32 v46, v46, v6                                 // 00000000629C: 0A5C0D2E
	v_mul_f32_e32 v47, v47, v7                                 // 0000000062A0: 0A5E0F2F
	v_mul_f32_e32 v44, v44, v60                                // 0000000062A4: 0A58792C
	v_mul_f32_e32 v45, v45, v61                                // 0000000062A8: 0A5A7B2D
	v_mul_f32_e32 v46, v46, v62                                // 0000000062AC: 0A5C7D2E
	v_mul_f32_e32 v47, v47, v63                                // 0000000062B0: 0A5E7F2F
	v_mul_f32_e64 v4, -v48, s6                                 // 0000000062B4: D1050004 20000D30
	v_mul_f32_e64 v5, -v49, s6                                 // 0000000062BC: D1050005 20000D31
	v_mul_f32_e64 v6, -v50, s6                                 // 0000000062C4: D1050006 20000D32
	v_mul_f32_e64 v7, -v51, s6                                 // 0000000062CC: D1050007 20000D33
	v_exp_f32_e32 v4, v4                                       // 0000000062D4: 7E084104
	v_exp_f32_e32 v5, v5                                       // 0000000062D8: 7E0A4105
	v_exp_f32_e32 v6, v6                                       // 0000000062DC: 7E0C4106
	v_exp_f32_e32 v7, v7                                       // 0000000062E0: 7E0E4107
	v_add_f32_e64 v4, v4, 1.0                                  // 0000000062E4: D1010004 0001E504
	v_add_f32_e64 v5, v5, 1.0                                  // 0000000062EC: D1010005 0001E505
	v_add_f32_e64 v6, v6, 1.0                                  // 0000000062F4: D1010006 0001E506
	v_add_f32_e64 v7, v7, 1.0                                  // 0000000062FC: D1010007 0001E507
	v_rcp_f32_e32 v4, v4                                       // 000000006304: 7E084504
	v_rcp_f32_e32 v5, v5                                       // 000000006308: 7E0A4505
	v_rcp_f32_e32 v6, v6                                       // 00000000630C: 7E0C4506
	v_rcp_f32_e32 v7, v7                                       // 000000006310: 7E0E4507
	v_mul_f32_e32 v48, v48, v4                                 // 000000006314: 0A600930
	v_mul_f32_e32 v49, v49, v5                                 // 000000006318: 0A620B31
	v_mul_f32_e32 v50, v50, v6                                 // 00000000631C: 0A640D32
	v_mul_f32_e32 v51, v51, v7                                 // 000000006320: 0A660F33
	v_mul_f32_e32 v48, v48, v64                                // 000000006324: 0A608130
	v_mul_f32_e32 v49, v49, v65                                // 000000006328: 0A628331
	v_mul_f32_e32 v50, v50, v66                                // 00000000632C: 0A648532
	v_mul_f32_e32 v51, v51, v67                                // 000000006330: 0A668733
	v_mul_f32_e64 v4, -v52, s6                                 // 000000006334: D1050004 20000D34
	v_mul_f32_e64 v5, -v53, s6                                 // 00000000633C: D1050005 20000D35
	v_mul_f32_e64 v6, -v54, s6                                 // 000000006344: D1050006 20000D36
	v_mul_f32_e64 v7, -v55, s6                                 // 00000000634C: D1050007 20000D37
	v_exp_f32_e32 v4, v4                                       // 000000006354: 7E084104
	v_exp_f32_e32 v5, v5                                       // 000000006358: 7E0A4105
	v_exp_f32_e32 v6, v6                                       // 00000000635C: 7E0C4106
	v_exp_f32_e32 v7, v7                                       // 000000006360: 7E0E4107
	v_add_f32_e64 v4, v4, 1.0                                  // 000000006364: D1010004 0001E504
	v_add_f32_e64 v5, v5, 1.0                                  // 00000000636C: D1010005 0001E505
	v_add_f32_e64 v6, v6, 1.0                                  // 000000006374: D1010006 0001E506
	v_add_f32_e64 v7, v7, 1.0                                  // 00000000637C: D1010007 0001E507
	v_rcp_f32_e32 v4, v4                                       // 000000006384: 7E084504
	v_rcp_f32_e32 v5, v5                                       // 000000006388: 7E0A4505
	v_rcp_f32_e32 v6, v6                                       // 00000000638C: 7E0C4506
	v_rcp_f32_e32 v7, v7                                       // 000000006390: 7E0E4507
	v_mul_f32_e32 v52, v52, v4                                 // 000000006394: 0A680934
	v_mul_f32_e32 v53, v53, v5                                 // 000000006398: 0A6A0B35
	v_mul_f32_e32 v54, v54, v6                                 // 00000000639C: 0A6C0D36
	v_mul_f32_e32 v55, v55, v7                                 // 0000000063A0: 0A6E0F37
	v_mul_f32_e32 v52, v52, v68                                // 0000000063A4: 0A688934
	v_mul_f32_e32 v53, v53, v69                                // 0000000063A8: 0A6A8B35
	v_mul_f32_e32 v54, v54, v70                                // 0000000063AC: 0A6C8D36
	v_mul_f32_e32 v55, v55, v71                                // 0000000063B0: 0A6E8F37
	v_mul_f32_e64 v4, -v56, s6                                 // 0000000063B4: D1050004 20000D38
	v_mul_f32_e64 v5, -v57, s6                                 // 0000000063BC: D1050005 20000D39
	v_mul_f32_e64 v6, -v58, s6                                 // 0000000063C4: D1050006 20000D3A
	v_mul_f32_e64 v7, -v59, s6                                 // 0000000063CC: D1050007 20000D3B
	v_exp_f32_e32 v4, v4                                       // 0000000063D4: 7E084104
	v_exp_f32_e32 v5, v5                                       // 0000000063D8: 7E0A4105
	v_exp_f32_e32 v6, v6                                       // 0000000063DC: 7E0C4106
	v_exp_f32_e32 v7, v7                                       // 0000000063E0: 7E0E4107
	v_add_f32_e64 v4, v4, 1.0                                  // 0000000063E4: D1010004 0001E504
	v_add_f32_e64 v5, v5, 1.0                                  // 0000000063EC: D1010005 0001E505
	v_add_f32_e64 v6, v6, 1.0                                  // 0000000063F4: D1010006 0001E506
	v_add_f32_e64 v7, v7, 1.0                                  // 0000000063FC: D1010007 0001E507
	v_rcp_f32_e32 v4, v4                                       // 000000006404: 7E084504
	v_rcp_f32_e32 v5, v5                                       // 000000006408: 7E0A4505
	v_rcp_f32_e32 v6, v6                                       // 00000000640C: 7E0C4506
	v_rcp_f32_e32 v7, v7                                       // 000000006410: 7E0E4507
	v_mul_f32_e32 v56, v56, v4                                 // 000000006414: 0A700938
	v_mul_f32_e32 v57, v57, v5                                 // 000000006418: 0A720B39
	v_mul_f32_e32 v58, v58, v6                                 // 00000000641C: 0A740D3A
	v_mul_f32_e32 v59, v59, v7                                 // 000000006420: 0A760F3B
	v_mul_f32_e32 v56, v56, v72                                // 000000006424: 0A709138
	v_mul_f32_e32 v57, v57, v73                                // 000000006428: 0A729339
	v_mul_f32_e32 v58, v58, v74                                // 00000000642C: 0A74953A
	v_mul_f32_e32 v59, v59, v75                                // 000000006430: 0A76973B

0000000000006434 <label_0E90>:
	v_cmp_u_f32_e64 s[46:47], v44, v44                         // 000000006434: D048002E 0002592C
	v_add3_u32 v16, v44, v19, 1                                // 00000000643C: D1FF0010 0206272C
	v_cndmask_b32_e64 v4, v16, v18, s[46:47]                   // 000000006444: D1000004 00BA2510
	v_cmp_u_f32_e64 s[46:47], v45, v45                         // 00000000644C: D048002E 00025B2D
	v_add3_u32 v16, v45, v19, 1                                // 000000006454: D1FF0010 0206272D
	v_cndmask_b32_e64 v5, v16, v18, s[46:47]                   // 00000000645C: D1000005 00BA2510
	v_perm_b32 v44, v5, v4, s52                                // 000000006464: D1ED002C 00D20905
	v_cmp_u_f32_e64 s[46:47], v46, v46                         // 00000000646C: D048002E 00025D2E
	v_add3_u32 v16, v46, v19, 1                                // 000000006474: D1FF0010 0206272E
	v_cndmask_b32_e64 v4, v16, v18, s[46:47]                   // 00000000647C: D1000004 00BA2510
	v_cmp_u_f32_e64 s[46:47], v47, v47                         // 000000006484: D048002E 00025F2F
	v_add3_u32 v16, v47, v19, 1                                // 00000000648C: D1FF0010 0206272F
	v_cndmask_b32_e64 v5, v16, v18, s[46:47]                   // 000000006494: D1000005 00BA2510
	v_perm_b32 v45, v5, v4, s52                                // 00000000649C: D1ED002D 00D20905
	v_cmp_u_f32_e64 s[46:47], v48, v48                         // 0000000064A4: D048002E 00026130
	v_add3_u32 v16, v48, v19, 1                                // 0000000064AC: D1FF0010 02062730
	v_cndmask_b32_e64 v4, v16, v18, s[46:47]                   // 0000000064B4: D1000004 00BA2510
	v_cmp_u_f32_e64 s[46:47], v49, v49                         // 0000000064BC: D048002E 00026331
	v_add3_u32 v16, v49, v19, 1                                // 0000000064C4: D1FF0010 02062731
	v_cndmask_b32_e64 v5, v16, v18, s[46:47]                   // 0000000064CC: D1000005 00BA2510
	v_perm_b32 v46, v5, v4, s52                                // 0000000064D4: D1ED002E 00D20905
	v_cmp_u_f32_e64 s[46:47], v50, v50                         // 0000000064DC: D048002E 00026532
	v_add3_u32 v16, v50, v19, 1                                // 0000000064E4: D1FF0010 02062732
	v_cndmask_b32_e64 v4, v16, v18, s[46:47]                   // 0000000064EC: D1000004 00BA2510
	v_cmp_u_f32_e64 s[46:47], v51, v51                         // 0000000064F4: D048002E 00026733
	v_add3_u32 v16, v51, v19, 1                                // 0000000064FC: D1FF0010 02062733
	v_cndmask_b32_e64 v5, v16, v18, s[46:47]                   // 000000006504: D1000005 00BA2510
	v_perm_b32 v47, v5, v4, s52                                // 00000000650C: D1ED002F 00D20905
	v_cmp_u_f32_e64 s[46:47], v52, v52                         // 000000006514: D048002E 00026934
	v_add3_u32 v16, v52, v19, 1                                // 00000000651C: D1FF0010 02062734
	v_cndmask_b32_e64 v4, v16, v18, s[46:47]                   // 000000006524: D1000004 00BA2510
	v_cmp_u_f32_e64 s[46:47], v53, v53                         // 00000000652C: D048002E 00026B35
	v_add3_u32 v16, v53, v19, 1                                // 000000006534: D1FF0010 02062735
	v_cndmask_b32_e64 v5, v16, v18, s[46:47]                   // 00000000653C: D1000005 00BA2510
	v_perm_b32 v48, v5, v4, s52                                // 000000006544: D1ED0030 00D20905
	v_cmp_u_f32_e64 s[46:47], v54, v54                         // 00000000654C: D048002E 00026D36
	v_add3_u32 v16, v54, v19, 1                                // 000000006554: D1FF0010 02062736
	v_cndmask_b32_e64 v4, v16, v18, s[46:47]                   // 00000000655C: D1000004 00BA2510
	v_cmp_u_f32_e64 s[46:47], v55, v55                         // 000000006564: D048002E 00026F37
	v_add3_u32 v16, v55, v19, 1                                // 00000000656C: D1FF0010 02062737
	v_cndmask_b32_e64 v5, v16, v18, s[46:47]                   // 000000006574: D1000005 00BA2510
	v_perm_b32 v49, v5, v4, s52                                // 00000000657C: D1ED0031 00D20905
	v_cmp_u_f32_e64 s[46:47], v56, v56                         // 000000006584: D048002E 00027138
	v_add3_u32 v16, v56, v19, 1                                // 00000000658C: D1FF0010 02062738
	v_cndmask_b32_e64 v4, v16, v18, s[46:47]                   // 000000006594: D1000004 00BA2510
	v_cmp_u_f32_e64 s[46:47], v57, v57                         // 00000000659C: D048002E 00027339
	v_add3_u32 v16, v57, v19, 1                                // 0000000065A4: D1FF0010 02062739
	v_cndmask_b32_e64 v5, v16, v18, s[46:47]                   // 0000000065AC: D1000005 00BA2510
	v_perm_b32 v50, v5, v4, s52                                // 0000000065B4: D1ED0032 00D20905
	v_cmp_u_f32_e64 s[46:47], v58, v58                         // 0000000065BC: D048002E 0002753A
	v_add3_u32 v16, v58, v19, 1                                // 0000000065C4: D1FF0010 0206273A
	v_cndmask_b32_e64 v4, v16, v18, s[46:47]                   // 0000000065CC: D1000004 00BA2510
	v_cmp_u_f32_e64 s[46:47], v59, v59                         // 0000000065D4: D048002E 0002773B
	v_add3_u32 v16, v59, v19, 1                                // 0000000065DC: D1FF0010 0206273B
	v_cndmask_b32_e64 v5, v16, v18, s[46:47]                   // 0000000065E4: D1000005 00BA2510
	v_perm_b32 v51, v5, v4, s52                                // 0000000065EC: D1ED0033 00D20905
	ds_write_b64 v20, v[44:45]                                 // 0000000065F4: D89A0000 00002C14
	ds_write_b64 v20, v[46:47] offset:4352                     // 0000000065FC: D89A1100 00002E14
	ds_write_b64 v20, v[48:49] offset:2176                     // 000000006604: D89A0880 00003014
	ds_write_b64 v20, v[50:51] offset:6528                     // 00000000660C: D89A1980 00003214
	v_lshrrev_b32_e32 v4, 5, v0                                // 000000006614: 20080085
	v_xor_b32_e32 v5, 1, v4                                    // 000000006618: 2A0A0881
	s_mul_i32 s60, s65, 2                                      // 00000000661C: 923C8241
	s_cmp_eq_u32 s88, 0                                        // 000000006620: BF068058
	s_cselect_b32 s61, 1, 4                                    // 000000006624: 853D8481
	s_mul_i32 s60, s61, s60                                    // 000000006628: 923C3C3D
	v_readlane_b32 s82, v3, 0                                  // 00000000662C: D2890052 00010103
	s_lshr_b32 s61, s82, 24                                    // 000000006634: 8F3D9852
	s_and_b32 s82, s82, 0xffffff                               // 000000006638: 8652FF52 00FFFFFF
	s_mul_i32 s82, s82, s71                                    // 000000006640: 92524752
	s_mul_i32 s61, s60, s61                                    // 000000006644: 923D3D3C
	s_add_u32 s82, s82, s61                                    // 000000006648: 80523D52
	v_mul_lo_u32 v6, v5, s82                                   // 00000000664C: D2850006 0000A505
	v_readlane_b32 s82, v3, 1                                  // 000000006654: D2890052 00010303
	s_lshr_b32 s61, s82, 24                                    // 00000000665C: 8F3D9852
	s_and_b32 s82, s82, 0xffffff                               // 000000006660: 8652FF52 00FFFFFF
	s_mul_i32 s82, s82, s71                                    // 000000006668: 92524752
	s_mul_i32 s61, s60, s61                                    // 00000000666C: 923D3D3C
	s_add_u32 s82, s82, s61                                    // 000000006670: 80523D52
	v_mul_lo_u32 v7, v4, s82                                   // 000000006674: D2850007 0000A504
	v_add_u32_e32 v38, v6, v7                                  // 00000000667C: 684C0F06
	v_readlane_b32 s82, v3, 2                                  // 000000006680: D2890052 00010503
	s_lshr_b32 s61, s82, 24                                    // 000000006688: 8F3D9852
	s_and_b32 s82, s82, 0xffffff                               // 00000000668C: 8652FF52 00FFFFFF
	s_mul_i32 s82, s82, s71                                    // 000000006694: 92524752
	s_mul_i32 s61, s60, s61                                    // 000000006698: 923D3D3C
	s_add_u32 s82, s82, s61                                    // 00000000669C: 80523D52
	v_mul_lo_u32 v6, v5, s82                                   // 0000000066A0: D2850006 0000A505
	v_readlane_b32 s82, v3, 3                                  // 0000000066A8: D2890052 00010703
	s_lshr_b32 s61, s82, 24                                    // 0000000066B0: 8F3D9852
	s_and_b32 s82, s82, 0xffffff                               // 0000000066B4: 8652FF52 00FFFFFF
	s_mul_i32 s82, s82, s71                                    // 0000000066BC: 92524752
	s_mul_i32 s61, s60, s61                                    // 0000000066C0: 923D3D3C
	s_add_u32 s82, s82, s61                                    // 0000000066C4: 80523D52
	v_mul_lo_u32 v7, v4, s82                                   // 0000000066C8: D2850007 0000A504
	v_add_u32_e32 v39, v6, v7                                  // 0000000066D0: 684E0F06
	v_readlane_b32 s82, v3, 4                                  // 0000000066D4: D2890052 00010903
	s_lshr_b32 s61, s82, 24                                    // 0000000066DC: 8F3D9852
	s_and_b32 s82, s82, 0xffffff                               // 0000000066E0: 8652FF52 00FFFFFF
	s_mul_i32 s82, s82, s71                                    // 0000000066E8: 92524752
	s_mul_i32 s61, s60, s61                                    // 0000000066EC: 923D3D3C
	s_add_u32 s82, s82, s61                                    // 0000000066F0: 80523D52
	v_mul_lo_u32 v6, v5, s82                                   // 0000000066F4: D2850006 0000A505
	v_readlane_b32 s82, v3, 5                                  // 0000000066FC: D2890052 00010B03
	s_lshr_b32 s61, s82, 24                                    // 000000006704: 8F3D9852
	s_and_b32 s82, s82, 0xffffff                               // 000000006708: 8652FF52 00FFFFFF
	s_mul_i32 s82, s82, s71                                    // 000000006710: 92524752
	s_mul_i32 s61, s60, s61                                    // 000000006714: 923D3D3C
	s_add_u32 s82, s82, s61                                    // 000000006718: 80523D52
	v_mul_lo_u32 v7, v4, s82                                   // 00000000671C: D2850007 0000A504
	v_add_u32_e32 v40, v6, v7                                  // 000000006724: 68500F06
	v_readlane_b32 s82, v3, 6                                  // 000000006728: D2890052 00010D03
	s_lshr_b32 s61, s82, 24                                    // 000000006730: 8F3D9852
	s_and_b32 s82, s82, 0xffffff                               // 000000006734: 8652FF52 00FFFFFF
	s_mul_i32 s82, s82, s71                                    // 00000000673C: 92524752
	s_mul_i32 s61, s60, s61                                    // 000000006740: 923D3D3C
	s_add_u32 s82, s82, s61                                    // 000000006744: 80523D52
	v_mul_lo_u32 v6, v5, s82                                   // 000000006748: D2850006 0000A505
	v_readlane_b32 s82, v3, 7                                  // 000000006750: D2890052 00010F03
	s_lshr_b32 s61, s82, 24                                    // 000000006758: 8F3D9852
	s_and_b32 s82, s82, 0xffffff                               // 00000000675C: 8652FF52 00FFFFFF
	s_mul_i32 s82, s82, s71                                    // 000000006764: 92524752
	s_mul_i32 s61, s60, s61                                    // 000000006768: 923D3D3C
	s_add_u32 s82, s82, s61                                    // 00000000676C: 80523D52
	v_mul_lo_u32 v7, v4, s82                                   // 000000006770: D2850007 0000A504
	v_add_u32_e32 v41, v6, v7                                  // 000000006778: 68520F06
	v_and_b32_e32 v4, 31, v0                                   // 00000000677C: 2608009F
	v_lshrrev_b32_e32 v4, 1, v4                                // 000000006780: 20080881
	s_cmp_eq_u32 s88, 0                                        // 000000006784: BF068058
	s_cselect_b32 s61, 2, 4                                    // 000000006788: 853D8482
	v_mul_lo_u32 v4, v4, s61                                   // 00000000678C: D2850004 00007B04
	v_and_b32_e64 v5, v0, 1                                    // 000000006794: D1130005 00010300
	v_add_u32_e32 v4, v4, v5                                   // 00000000679C: 68080B04
	v_lshlrev_b32_e32 v4, 2, v4                                // 0000000067A0: 24080882
	v_add_u32_e32 v38, v38, v4                                 // 0000000067A4: 684C0926
	v_add_u32_e32 v39, v39, v4                                 // 0000000067A8: 684E0927
	v_add_u32_e32 v40, v40, v4                                 // 0000000067AC: 68500928
	v_add_u32_e32 v41, v41, v4                                 // 0000000067B0: 68520929
	s_waitcnt lgkmcnt(0)                                       // 0000000067B4: BF8CC07F
	s_barrier                                                  // 0000000067B8: BF8A0000
	ds_read_b32 v44, v21                                       // 0000000067BC: D86C0000 2C000015
	ds_read_b32 v45, v21 offset:64                             // 0000000067C4: D86C0040 2D000015
	ds_read_b32 v46, v21 offset:2176                           // 0000000067CC: D86C0880 2E000015
	ds_read_b32 v47, v21 offset:2240                           // 0000000067D4: D86C08C0 2F000015
	ds_read_b32 v48, v21 offset:4352                           // 0000000067DC: D86C1100 30000015
	ds_read_b32 v49, v21 offset:4416                           // 0000000067E4: D86C1140 31000015
	ds_read_b32 v50, v21 offset:6528                           // 0000000067EC: D86C1980 32000015
	ds_read_b32 v51, v21 offset:6592                           // 0000000067F4: D86C19C0 33000015
	s_waitcnt lgkmcnt(0)                                       // 0000000067FC: BF8CC07F
	s_mov_b32 s36, -1                                          // 000000006800: BEA400C1
	s_mov_b32 s37, -1                                          // 000000006804: BEA500C1
	v_mov_b32_e32 v7, 0                                        // 000000006808: 7E0E0280
	s_or_b32 s9, s9, 0x40000                                   // 00000000680C: 8709FF09 00040000
	s_mov_b64 exec, s[36:37]                                   // 000000006814: BEFE0124
	v_mov_b32_e32 v6, v38                                      // 000000006818: 7E0C0326
	s_mov_b64 s[60:61], 0                                      // 00000000681C: BEBC0180
	v_readlane_b32 s82, v3, 0                                  // 000000006820: D2890052 00010103
	s_and_b32 s82, s82, 0xffffff                               // 000000006828: 8652FF52 00FFFFFF
	s_cmp_lt_u32 s82, s66                                      // 000000006830: BF0A4252
	s_cselect_b32 s20, s36, s60                                // 000000006834: 85143C24
	v_readlane_b32 s82, v3, 1                                  // 000000006838: D2890052 00010303
	s_and_b32 s82, s82, 0xffffff                               // 000000006840: 8652FF52 00FFFFFF
	s_cmp_lt_u32 s82, s66                                      // 000000006848: BF0A4252
	s_cselect_b32 s21, s36, s60                                // 00000000684C: 85153C24
	s_mov_b64 exec, s[20:21]                                   // 000000006850: BEFE0114
	buffer_store_dword v44, v6, s[8:11], 0 offen               // 000000006854: E0701000 80022C06
	buffer_store_dword v46, v6, s[8:11], 0 offen offset:128    // 00000000685C: E0701080 80022E06
	s_mov_b64 exec, s[36:37]                                   // 000000006864: BEFE0124
	v_mov_b32_e32 v6, v39                                      // 000000006868: 7E0C0327
	s_mov_b64 s[60:61], 0                                      // 00000000686C: BEBC0180
	v_readlane_b32 s82, v3, 2                                  // 000000006870: D2890052 00010503
	s_and_b32 s82, s82, 0xffffff                               // 000000006878: 8652FF52 00FFFFFF
	s_cmp_lt_u32 s82, s66                                      // 000000006880: BF0A4252
	s_cselect_b32 s20, s36, s60                                // 000000006884: 85143C24
	v_readlane_b32 s82, v3, 3                                  // 000000006888: D2890052 00010703
	s_and_b32 s82, s82, 0xffffff                               // 000000006890: 8652FF52 00FFFFFF
	s_cmp_lt_u32 s82, s66                                      // 000000006898: BF0A4252
	s_cselect_b32 s21, s36, s60                                // 00000000689C: 85153C24
	s_mov_b64 exec, s[20:21]                                   // 0000000068A0: BEFE0114
	buffer_store_dword v45, v6, s[8:11], 0 offen               // 0000000068A4: E0701000 80022D06
	buffer_store_dword v47, v6, s[8:11], 0 offen offset:128    // 0000000068AC: E0701080 80022F06
	s_mov_b64 exec, s[36:37]                                   // 0000000068B4: BEFE0124
	v_mov_b32_e32 v6, v40                                      // 0000000068B8: 7E0C0328
	s_mov_b64 s[60:61], 0                                      // 0000000068BC: BEBC0180
	v_readlane_b32 s82, v3, 4                                  // 0000000068C0: D2890052 00010903
	s_and_b32 s82, s82, 0xffffff                               // 0000000068C8: 8652FF52 00FFFFFF
	s_cmp_lt_u32 s82, s66                                      // 0000000068D0: BF0A4252
	s_cselect_b32 s20, s36, s60                                // 0000000068D4: 85143C24
	v_readlane_b32 s82, v3, 5                                  // 0000000068D8: D2890052 00010B03
	s_and_b32 s82, s82, 0xffffff                               // 0000000068E0: 8652FF52 00FFFFFF
	s_cmp_lt_u32 s82, s66                                      // 0000000068E8: BF0A4252
	s_cselect_b32 s21, s36, s60                                // 0000000068EC: 85153C24
	s_mov_b64 exec, s[20:21]                                   // 0000000068F0: BEFE0114
	buffer_store_dword v48, v6, s[8:11], 0 offen               // 0000000068F4: E0701000 80023006
	buffer_store_dword v50, v6, s[8:11], 0 offen offset:128    // 0000000068FC: E0701080 80023206
	s_mov_b64 exec, s[36:37]                                   // 000000006904: BEFE0124
	v_mov_b32_e32 v6, v41                                      // 000000006908: 7E0C0329
	s_mov_b64 s[60:61], 0                                      // 00000000690C: BEBC0180
	v_readlane_b32 s82, v3, 6                                  // 000000006910: D2890052 00010D03
	s_and_b32 s82, s82, 0xffffff                               // 000000006918: 8652FF52 00FFFFFF
	s_cmp_lt_u32 s82, s66                                      // 000000006920: BF0A4252
	s_cselect_b32 s20, s36, s60                                // 000000006924: 85143C24
	v_readlane_b32 s82, v3, 7                                  // 000000006928: D2890052 00010F03
	s_and_b32 s82, s82, 0xffffff                               // 000000006930: 8652FF52 00FFFFFF
	s_cmp_lt_u32 s82, s66                                      // 000000006938: BF0A4252
	s_cselect_b32 s21, s36, s60                                // 00000000693C: 85153C24
	s_mov_b64 exec, s[20:21]                                   // 000000006940: BEFE0114
	buffer_store_dword v49, v6, s[8:11], 0 offen               // 000000006944: E0701000 80023106
	buffer_store_dword v51, v6, s[8:11], 0 offen offset:128    // 00000000694C: E0701080 80023306
	s_mov_b64 exec, s[36:37]                                   // 000000006954: BEFE0124
	s_branch label_11FC                                        // 000000006958: BF820222

000000000000695c <label_0FDA>:
	ds_write_b64 v20, v[44:45]                                 // 00000000695C: D89A0000 00002C14
	ds_write_b64 v20, v[48:49] offset:4352                     // 000000006964: D89A1100 00003014
	ds_write_b64 v20, v[52:53] offset:2176                     // 00000000696C: D89A0880 00003414
	ds_write_b64 v20, v[56:57] offset:6528                     // 000000006974: D89A1980 00003814
	v_lshrrev_b32_e32 v4, 5, v0                                // 00000000697C: 20080085
	v_xor_b32_e32 v5, 1, v4                                    // 000000006980: 2A0A0881
	s_mul_i32 s60, s65, 2                                      // 000000006984: 923C8241
	s_cmp_eq_u32 s88, 0                                        // 000000006988: BF068058
	s_cselect_b32 s61, 1, 4                                    // 00000000698C: 853D8481
	s_mul_i32 s60, s61, s60                                    // 000000006990: 923C3C3D
	v_readlane_b32 s82, v3, 0                                  // 000000006994: D2890052 00010103
	s_lshr_b32 s61, s82, 24                                    // 00000000699C: 8F3D9852
	s_and_b32 s82, s82, 0xffffff                               // 0000000069A0: 8652FF52 00FFFFFF
	s_mul_i32 s82, s82, s71                                    // 0000000069A8: 92524752
	s_mul_i32 s61, s60, s61                                    // 0000000069AC: 923D3D3C
	s_add_u32 s82, s82, s61                                    // 0000000069B0: 80523D52
	v_mul_lo_u32 v6, v5, s82                                   // 0000000069B4: D2850006 0000A505
	v_readlane_b32 s82, v3, 1                                  // 0000000069BC: D2890052 00010303
	s_lshr_b32 s61, s82, 24                                    // 0000000069C4: 8F3D9852
	s_and_b32 s82, s82, 0xffffff                               // 0000000069C8: 8652FF52 00FFFFFF
	s_mul_i32 s82, s82, s71                                    // 0000000069D0: 92524752
	s_mul_i32 s61, s60, s61                                    // 0000000069D4: 923D3D3C
	s_add_u32 s82, s82, s61                                    // 0000000069D8: 80523D52
	v_mul_lo_u32 v7, v4, s82                                   // 0000000069DC: D2850007 0000A504
	v_add_u32_e32 v38, v6, v7                                  // 0000000069E4: 684C0F06
	v_readlane_b32 s82, v3, 2                                  // 0000000069E8: D2890052 00010503
	s_lshr_b32 s61, s82, 24                                    // 0000000069F0: 8F3D9852
	s_and_b32 s82, s82, 0xffffff                               // 0000000069F4: 8652FF52 00FFFFFF
	s_mul_i32 s82, s82, s71                                    // 0000000069FC: 92524752
	s_mul_i32 s61, s60, s61                                    // 000000006A00: 923D3D3C
	s_add_u32 s82, s82, s61                                    // 000000006A04: 80523D52
	v_mul_lo_u32 v6, v5, s82                                   // 000000006A08: D2850006 0000A505
	v_readlane_b32 s82, v3, 3                                  // 000000006A10: D2890052 00010703
	s_lshr_b32 s61, s82, 24                                    // 000000006A18: 8F3D9852
	s_and_b32 s82, s82, 0xffffff                               // 000000006A1C: 8652FF52 00FFFFFF
	s_mul_i32 s82, s82, s71                                    // 000000006A24: 92524752
	s_mul_i32 s61, s60, s61                                    // 000000006A28: 923D3D3C
	s_add_u32 s82, s82, s61                                    // 000000006A2C: 80523D52
	v_mul_lo_u32 v7, v4, s82                                   // 000000006A30: D2850007 0000A504
	v_add_u32_e32 v39, v6, v7                                  // 000000006A38: 684E0F06
	v_readlane_b32 s82, v3, 4                                  // 000000006A3C: D2890052 00010903
	s_lshr_b32 s61, s82, 24                                    // 000000006A44: 8F3D9852
	s_and_b32 s82, s82, 0xffffff                               // 000000006A48: 8652FF52 00FFFFFF
	s_mul_i32 s82, s82, s71                                    // 000000006A50: 92524752
	s_mul_i32 s61, s60, s61                                    // 000000006A54: 923D3D3C
	s_add_u32 s82, s82, s61                                    // 000000006A58: 80523D52
	v_mul_lo_u32 v6, v5, s82                                   // 000000006A5C: D2850006 0000A505
	v_readlane_b32 s82, v3, 5                                  // 000000006A64: D2890052 00010B03
	s_lshr_b32 s61, s82, 24                                    // 000000006A6C: 8F3D9852
	s_and_b32 s82, s82, 0xffffff                               // 000000006A70: 8652FF52 00FFFFFF
	s_mul_i32 s82, s82, s71                                    // 000000006A78: 92524752
	s_mul_i32 s61, s60, s61                                    // 000000006A7C: 923D3D3C
	s_add_u32 s82, s82, s61                                    // 000000006A80: 80523D52
	v_mul_lo_u32 v7, v4, s82                                   // 000000006A84: D2850007 0000A504
	v_add_u32_e32 v40, v6, v7                                  // 000000006A8C: 68500F06
	v_readlane_b32 s82, v3, 6                                  // 000000006A90: D2890052 00010D03
	s_lshr_b32 s61, s82, 24                                    // 000000006A98: 8F3D9852
	s_and_b32 s82, s82, 0xffffff                               // 000000006A9C: 8652FF52 00FFFFFF
	s_mul_i32 s82, s82, s71                                    // 000000006AA4: 92524752
	s_mul_i32 s61, s60, s61                                    // 000000006AA8: 923D3D3C
	s_add_u32 s82, s82, s61                                    // 000000006AAC: 80523D52
	v_mul_lo_u32 v6, v5, s82                                   // 000000006AB0: D2850006 0000A505
	v_readlane_b32 s82, v3, 7                                  // 000000006AB8: D2890052 00010F03
	s_lshr_b32 s61, s82, 24                                    // 000000006AC0: 8F3D9852
	s_and_b32 s82, s82, 0xffffff                               // 000000006AC4: 8652FF52 00FFFFFF
	s_mul_i32 s82, s82, s71                                    // 000000006ACC: 92524752
	s_mul_i32 s61, s60, s61                                    // 000000006AD0: 923D3D3C
	s_add_u32 s82, s82, s61                                    // 000000006AD4: 80523D52
	v_mul_lo_u32 v7, v4, s82                                   // 000000006AD8: D2850007 0000A504
	v_add_u32_e32 v41, v6, v7                                  // 000000006AE0: 68520F06
	v_and_b32_e32 v4, 31, v0                                   // 000000006AE4: 2608009F
	v_lshrrev_b32_e32 v4, 1, v4                                // 000000006AE8: 20080881
	s_cmp_eq_u32 s88, 0                                        // 000000006AEC: BF068058
	s_cselect_b32 s61, 2, 4                                    // 000000006AF0: 853D8482
	v_mul_lo_u32 v4, v4, s61                                   // 000000006AF4: D2850004 00007B04
	v_and_b32_e64 v5, v0, 1                                    // 000000006AFC: D1130005 00010300
	v_add_u32_e32 v4, v4, v5                                   // 000000006B04: 68080B04
	v_lshlrev_b32_e32 v4, 2, v4                                // 000000006B08: 24080882
	v_add_u32_e32 v38, v38, v4                                 // 000000006B0C: 684C0926
	v_add_u32_e32 v39, v39, v4                                 // 000000006B10: 684E0927
	v_add_u32_e32 v40, v40, v4                                 // 000000006B14: 68500928
	v_add_u32_e32 v41, v41, v4                                 // 000000006B18: 68520929
	s_waitcnt lgkmcnt(0)                                       // 000000006B1C: BF8CC07F
	s_barrier                                                  // 000000006B20: BF8A0000
	ds_read_b32 v44, v21                                       // 000000006B24: D86C0000 2C000015
	ds_read_b32 v45, v21 offset:64                             // 000000006B2C: D86C0040 2D000015
	ds_read_b32 v48, v21 offset:2176                           // 000000006B34: D86C0880 30000015
	ds_read_b32 v49, v21 offset:2240                           // 000000006B3C: D86C08C0 31000015
	ds_read_b32 v52, v21 offset:4352                           // 000000006B44: D86C1100 34000015
	ds_read_b32 v53, v21 offset:4416                           // 000000006B4C: D86C1140 35000015
	ds_read_b32 v56, v21 offset:6528                           // 000000006B54: D86C1980 38000015
	ds_read_b32 v57, v21 offset:6592                           // 000000006B5C: D86C19C0 39000015
	s_waitcnt lgkmcnt(0)                                       // 000000006B64: BF8CC07F
	s_mov_b32 s36, -1                                          // 000000006B68: BEA400C1
	s_mov_b32 s37, -1                                          // 000000006B6C: BEA500C1
	v_mov_b32_e32 v7, 0                                        // 000000006B70: 7E0E0280
	s_mov_b64 exec, s[36:37]                                   // 000000006B74: BEFE0124
	v_mov_b32_e32 v6, v38                                      // 000000006B78: 7E0C0326
	s_mov_b64 s[60:61], 0                                      // 000000006B7C: BEBC0180
	v_readlane_b32 s82, v3, 0                                  // 000000006B80: D2890052 00010103
	s_and_b32 s82, s82, 0xffffff                               // 000000006B88: 8652FF52 00FFFFFF
	s_cmp_lt_u32 s82, s66                                      // 000000006B90: BF0A4252
	s_cselect_b32 s20, s36, s60                                // 000000006B94: 85143C24
	v_readlane_b32 s82, v3, 1                                  // 000000006B98: D2890052 00010303
	s_and_b32 s82, s82, 0xffffff                               // 000000006BA0: 8652FF52 00FFFFFF
	s_cmp_lt_u32 s82, s66                                      // 000000006BA8: BF0A4252
	s_cselect_b32 s21, s36, s60                                // 000000006BAC: 85153C24
	s_mov_b64 exec, s[20:21]                                   // 000000006BB0: BEFE0114
	global_atomic_add_f32 v6, v44, s[8:9]                      // 000000006BB4: DD348000 00082C06
	global_atomic_add_f32 v6, v48, s[8:9] offset:256           // 000000006BBC: DD348100 00083006
	s_mov_b64 exec, s[36:37]                                   // 000000006BC4: BEFE0124
	v_mov_b32_e32 v6, v39                                      // 000000006BC8: 7E0C0327
	s_mov_b64 s[60:61], 0                                      // 000000006BCC: BEBC0180
	v_readlane_b32 s82, v3, 2                                  // 000000006BD0: D2890052 00010503
	s_and_b32 s82, s82, 0xffffff                               // 000000006BD8: 8652FF52 00FFFFFF
	s_cmp_lt_u32 s82, s66                                      // 000000006BE0: BF0A4252
	s_cselect_b32 s20, s36, s60                                // 000000006BE4: 85143C24
	v_readlane_b32 s82, v3, 3                                  // 000000006BE8: D2890052 00010703
	s_and_b32 s82, s82, 0xffffff                               // 000000006BF0: 8652FF52 00FFFFFF
	s_cmp_lt_u32 s82, s66                                      // 000000006BF8: BF0A4252
	s_cselect_b32 s21, s36, s60                                // 000000006BFC: 85153C24
	s_mov_b64 exec, s[20:21]                                   // 000000006C00: BEFE0114
	global_atomic_add_f32 v6, v45, s[8:9]                      // 000000006C04: DD348000 00082D06
	global_atomic_add_f32 v6, v49, s[8:9] offset:256           // 000000006C0C: DD348100 00083106
	s_mov_b64 exec, s[36:37]                                   // 000000006C14: BEFE0124
	v_mov_b32_e32 v6, v40                                      // 000000006C18: 7E0C0328
	s_mov_b64 s[60:61], 0                                      // 000000006C1C: BEBC0180
	v_readlane_b32 s82, v3, 4                                  // 000000006C20: D2890052 00010903
	s_and_b32 s82, s82, 0xffffff                               // 000000006C28: 8652FF52 00FFFFFF
	s_cmp_lt_u32 s82, s66                                      // 000000006C30: BF0A4252
	s_cselect_b32 s20, s36, s60                                // 000000006C34: 85143C24
	v_readlane_b32 s82, v3, 5                                  // 000000006C38: D2890052 00010B03
	s_and_b32 s82, s82, 0xffffff                               // 000000006C40: 8652FF52 00FFFFFF
	s_cmp_lt_u32 s82, s66                                      // 000000006C48: BF0A4252
	s_cselect_b32 s21, s36, s60                                // 000000006C4C: 85153C24
	s_mov_b64 exec, s[20:21]                                   // 000000006C50: BEFE0114
	global_atomic_add_f32 v6, v52, s[8:9]                      // 000000006C54: DD348000 00083406
	global_atomic_add_f32 v6, v56, s[8:9] offset:256           // 000000006C5C: DD348100 00083806
	s_mov_b64 exec, s[36:37]                                   // 000000006C64: BEFE0124
	v_mov_b32_e32 v6, v41                                      // 000000006C68: 7E0C0329
	s_mov_b64 s[60:61], 0                                      // 000000006C6C: BEBC0180
	v_readlane_b32 s82, v3, 6                                  // 000000006C70: D2890052 00010D03
	s_and_b32 s82, s82, 0xffffff                               // 000000006C78: 8652FF52 00FFFFFF
	s_cmp_lt_u32 s82, s66                                      // 000000006C80: BF0A4252
	s_cselect_b32 s20, s36, s60                                // 000000006C84: 85143C24
	v_readlane_b32 s82, v3, 7                                  // 000000006C88: D2890052 00010F03
	s_and_b32 s82, s82, 0xffffff                               // 000000006C90: 8652FF52 00FFFFFF
	s_cmp_lt_u32 s82, s66                                      // 000000006C98: BF0A4252
	s_cselect_b32 s21, s36, s60                                // 000000006C9C: 85153C24
	s_mov_b64 exec, s[20:21]                                   // 000000006CA0: BEFE0114
	global_atomic_add_f32 v6, v53, s[8:9]                      // 000000006CA4: DD348000 00083506
	global_atomic_add_f32 v6, v57, s[8:9] offset:256           // 000000006CAC: DD348100 00083906
	s_mov_b64 exec, s[36:37]                                   // 000000006CB4: BEFE0124
	ds_write_b64 v20, v[46:47]                                 // 000000006CB8: D89A0000 00002E14
	ds_write_b64 v20, v[50:51] offset:4352                     // 000000006CC0: D89A1100 00003214
	ds_write_b64 v20, v[54:55] offset:2176                     // 000000006CC8: D89A0880 00003614
	ds_write_b64 v20, v[58:59] offset:6528                     // 000000006CD0: D89A1980 00003A14
	s_waitcnt lgkmcnt(0)                                       // 000000006CD8: BF8CC07F
	s_barrier                                                  // 000000006CDC: BF8A0000
	ds_read_b32 v46, v21                                       // 000000006CE0: D86C0000 2E000015
	ds_read_b32 v47, v21 offset:64                             // 000000006CE8: D86C0040 2F000015
	ds_read_b32 v50, v21 offset:2176                           // 000000006CF0: D86C0880 32000015
	ds_read_b32 v51, v21 offset:2240                           // 000000006CF8: D86C08C0 33000015
	ds_read_b32 v54, v21 offset:4352                           // 000000006D00: D86C1100 36000015
	ds_read_b32 v55, v21 offset:4416                           // 000000006D08: D86C1140 37000015
	ds_read_b32 v58, v21 offset:6528                           // 000000006D10: D86C1980 3A000015
	ds_read_b32 v59, v21 offset:6592                           // 000000006D18: D86C19C0 3B000015
	s_waitcnt lgkmcnt(0)                                       // 000000006D20: BF8CC07F
	v_mov_b32_e32 v7, 0                                        // 000000006D24: 7E0E0280
	s_mov_b64 exec, s[36:37]                                   // 000000006D28: BEFE0124
	v_mov_b32_e32 v6, v38                                      // 000000006D2C: 7E0C0326
	s_mov_b64 s[60:61], 0                                      // 000000006D30: BEBC0180
	v_readlane_b32 s82, v3, 0                                  // 000000006D34: D2890052 00010103
	s_and_b32 s82, s82, 0xffffff                               // 000000006D3C: 8652FF52 00FFFFFF
	s_cmp_lt_u32 s82, s66                                      // 000000006D44: BF0A4252
	s_cselect_b32 s20, s36, s60                                // 000000006D48: 85143C24
	v_readlane_b32 s82, v3, 1                                  // 000000006D4C: D2890052 00010303
	s_and_b32 s82, s82, 0xffffff                               // 000000006D54: 8652FF52 00FFFFFF
	s_cmp_lt_u32 s82, s66                                      // 000000006D5C: BF0A4252
	s_cselect_b32 s21, s36, s60                                // 000000006D60: 85153C24
	s_mov_b64 exec, s[20:21]                                   // 000000006D64: BEFE0114
	global_atomic_add_f32 v6, v46, s[8:9] offset:8             // 000000006D68: DD348008 00082E06
	global_atomic_add_f32 v6, v50, s[8:9] offset:264           // 000000006D70: DD348108 00083206
	s_mov_b64 exec, s[36:37]                                   // 000000006D78: BEFE0124
	v_mov_b32_e32 v6, v39                                      // 000000006D7C: 7E0C0327
	s_mov_b64 s[60:61], 0                                      // 000000006D80: BEBC0180
	v_readlane_b32 s82, v3, 2                                  // 000000006D84: D2890052 00010503
	s_and_b32 s82, s82, 0xffffff                               // 000000006D8C: 8652FF52 00FFFFFF
	s_cmp_lt_u32 s82, s66                                      // 000000006D94: BF0A4252
	s_cselect_b32 s20, s36, s60                                // 000000006D98: 85143C24
	v_readlane_b32 s82, v3, 3                                  // 000000006D9C: D2890052 00010703
	s_and_b32 s82, s82, 0xffffff                               // 000000006DA4: 8652FF52 00FFFFFF
	s_cmp_lt_u32 s82, s66                                      // 000000006DAC: BF0A4252
	s_cselect_b32 s21, s36, s60                                // 000000006DB0: 85153C24
	s_mov_b64 exec, s[20:21]                                   // 000000006DB4: BEFE0114
	global_atomic_add_f32 v6, v47, s[8:9] offset:8             // 000000006DB8: DD348008 00082F06
	global_atomic_add_f32 v6, v51, s[8:9] offset:264           // 000000006DC0: DD348108 00083306
	s_mov_b64 exec, s[36:37]                                   // 000000006DC8: BEFE0124
	v_mov_b32_e32 v6, v40                                      // 000000006DCC: 7E0C0328
	s_mov_b64 s[60:61], 0                                      // 000000006DD0: BEBC0180
	v_readlane_b32 s82, v3, 4                                  // 000000006DD4: D2890052 00010903
	s_and_b32 s82, s82, 0xffffff                               // 000000006DDC: 8652FF52 00FFFFFF
	s_cmp_lt_u32 s82, s66                                      // 000000006DE4: BF0A4252
	s_cselect_b32 s20, s36, s60                                // 000000006DE8: 85143C24
	v_readlane_b32 s82, v3, 5                                  // 000000006DEC: D2890052 00010B03
	s_and_b32 s82, s82, 0xffffff                               // 000000006DF4: 8652FF52 00FFFFFF
	s_cmp_lt_u32 s82, s66                                      // 000000006DFC: BF0A4252
	s_cselect_b32 s21, s36, s60                                // 000000006E00: 85153C24
	s_mov_b64 exec, s[20:21]                                   // 000000006E04: BEFE0114
	global_atomic_add_f32 v6, v54, s[8:9] offset:8             // 000000006E08: DD348008 00083606
	global_atomic_add_f32 v6, v58, s[8:9] offset:264           // 000000006E10: DD348108 00083A06
	s_mov_b64 exec, s[36:37]                                   // 000000006E18: BEFE0124
	v_mov_b32_e32 v6, v41                                      // 000000006E1C: 7E0C0329
	s_mov_b64 s[60:61], 0                                      // 000000006E20: BEBC0180
	v_readlane_b32 s82, v3, 6                                  // 000000006E24: D2890052 00010D03
	s_and_b32 s82, s82, 0xffffff                               // 000000006E2C: 8652FF52 00FFFFFF
	s_cmp_lt_u32 s82, s66                                      // 000000006E34: BF0A4252
	s_cselect_b32 s20, s36, s60                                // 000000006E38: 85143C24
	v_readlane_b32 s82, v3, 7                                  // 000000006E3C: D2890052 00010F03
	s_and_b32 s82, s82, 0xffffff                               // 000000006E44: 8652FF52 00FFFFFF
	s_cmp_lt_u32 s82, s66                                      // 000000006E4C: BF0A4252
	s_cselect_b32 s21, s36, s60                                // 000000006E50: 85153C24
	s_mov_b64 exec, s[20:21]                                   // 000000006E54: BEFE0114
	global_atomic_add_f32 v6, v55, s[8:9] offset:8             // 000000006E58: DD348008 00083706
	global_atomic_add_f32 v6, v59, s[8:9] offset:264           // 000000006E60: DD348108 00083B06
	s_mov_b64 exec, s[36:37]                                   // 000000006E68: BEFE0124
	ds_write_b64 v20, v[60:61]                                 // 000000006E6C: D89A0000 00003C14
	ds_write_b64 v20, v[64:65] offset:4352                     // 000000006E74: D89A1100 00004014
	ds_write_b64 v20, v[68:69] offset:2176                     // 000000006E7C: D89A0880 00004414
	ds_write_b64 v20, v[72:73] offset:6528                     // 000000006E84: D89A1980 00004814
	s_waitcnt lgkmcnt(0)                                       // 000000006E8C: BF8CC07F
	s_barrier                                                  // 000000006E90: BF8A0000
	ds_read_b32 v60, v21                                       // 000000006E94: D86C0000 3C000015
	ds_read_b32 v61, v21 offset:64                             // 000000006E9C: D86C0040 3D000015
	ds_read_b32 v64, v21 offset:2176                           // 000000006EA4: D86C0880 40000015
	ds_read_b32 v65, v21 offset:2240                           // 000000006EAC: D86C08C0 41000015
	ds_read_b32 v68, v21 offset:4352                           // 000000006EB4: D86C1100 44000015
	ds_read_b32 v69, v21 offset:4416                           // 000000006EBC: D86C1140 45000015
	ds_read_b32 v72, v21 offset:6528                           // 000000006EC4: D86C1980 48000015
	ds_read_b32 v73, v21 offset:6592                           // 000000006ECC: D86C19C0 49000015
	s_mul_i32 s60, s65, 4                                      // 000000006ED4: 923C8441
	s_add_u32 s8, s60, s8                                      // 000000006ED8: 8008083C
	s_addc_u32 s9, 0, s9                                       // 000000006EDC: 82090980
	s_waitcnt lgkmcnt(0)                                       // 000000006EE0: BF8CC07F
	v_mov_b32_e32 v7, 0                                        // 000000006EE4: 7E0E0280
	s_mov_b64 exec, s[36:37]                                   // 000000006EE8: BEFE0124
	v_mov_b32_e32 v6, v38                                      // 000000006EEC: 7E0C0326
	s_mov_b64 s[60:61], 0                                      // 000000006EF0: BEBC0180
	v_readlane_b32 s82, v3, 0                                  // 000000006EF4: D2890052 00010103
	s_and_b32 s82, s82, 0xffffff                               // 000000006EFC: 8652FF52 00FFFFFF
	s_cmp_lt_u32 s82, s66                                      // 000000006F04: BF0A4252
	s_cselect_b32 s20, s36, s60                                // 000000006F08: 85143C24
	v_readlane_b32 s82, v3, 1                                  // 000000006F0C: D2890052 00010303
	s_and_b32 s82, s82, 0xffffff                               // 000000006F14: 8652FF52 00FFFFFF
	s_cmp_lt_u32 s82, s66                                      // 000000006F1C: BF0A4252
	s_cselect_b32 s21, s36, s60                                // 000000006F20: 85153C24
	s_mov_b64 exec, s[20:21]                                   // 000000006F24: BEFE0114
	global_atomic_add_f32 v6, v60, s[8:9]                      // 000000006F28: DD348000 00083C06
	global_atomic_add_f32 v6, v64, s[8:9] offset:256           // 000000006F30: DD348100 00084006
	s_mov_b64 exec, s[36:37]                                   // 000000006F38: BEFE0124
	v_mov_b32_e32 v6, v39                                      // 000000006F3C: 7E0C0327
	s_mov_b64 s[60:61], 0                                      // 000000006F40: BEBC0180
	v_readlane_b32 s82, v3, 2                                  // 000000006F44: D2890052 00010503
	s_and_b32 s82, s82, 0xffffff                               // 000000006F4C: 8652FF52 00FFFFFF
	s_cmp_lt_u32 s82, s66                                      // 000000006F54: BF0A4252
	s_cselect_b32 s20, s36, s60                                // 000000006F58: 85143C24
	v_readlane_b32 s82, v3, 3                                  // 000000006F5C: D2890052 00010703
	s_and_b32 s82, s82, 0xffffff                               // 000000006F64: 8652FF52 00FFFFFF
	s_cmp_lt_u32 s82, s66                                      // 000000006F6C: BF0A4252
	s_cselect_b32 s21, s36, s60                                // 000000006F70: 85153C24
	s_mov_b64 exec, s[20:21]                                   // 000000006F74: BEFE0114
	global_atomic_add_f32 v6, v61, s[8:9]                      // 000000006F78: DD348000 00083D06
	global_atomic_add_f32 v6, v65, s[8:9] offset:256           // 000000006F80: DD348100 00084106
	s_mov_b64 exec, s[36:37]                                   // 000000006F88: BEFE0124
	v_mov_b32_e32 v6, v40                                      // 000000006F8C: 7E0C0328
	s_mov_b64 s[60:61], 0                                      // 000000006F90: BEBC0180
	v_readlane_b32 s82, v3, 4                                  // 000000006F94: D2890052 00010903
	s_and_b32 s82, s82, 0xffffff                               // 000000006F9C: 8652FF52 00FFFFFF
	s_cmp_lt_u32 s82, s66                                      // 000000006FA4: BF0A4252
	s_cselect_b32 s20, s36, s60                                // 000000006FA8: 85143C24
	v_readlane_b32 s82, v3, 5                                  // 000000006FAC: D2890052 00010B03
	s_and_b32 s82, s82, 0xffffff                               // 000000006FB4: 8652FF52 00FFFFFF
	s_cmp_lt_u32 s82, s66                                      // 000000006FBC: BF0A4252
	s_cselect_b32 s21, s36, s60                                // 000000006FC0: 85153C24
	s_mov_b64 exec, s[20:21]                                   // 000000006FC4: BEFE0114
	global_atomic_add_f32 v6, v68, s[8:9]                      // 000000006FC8: DD348000 00084406
	global_atomic_add_f32 v6, v72, s[8:9] offset:256           // 000000006FD0: DD348100 00084806
	s_mov_b64 exec, s[36:37]                                   // 000000006FD8: BEFE0124
	v_mov_b32_e32 v6, v41                                      // 000000006FDC: 7E0C0329
	s_mov_b64 s[60:61], 0                                      // 000000006FE0: BEBC0180
	v_readlane_b32 s82, v3, 6                                  // 000000006FE4: D2890052 00010D03
	s_and_b32 s82, s82, 0xffffff                               // 000000006FEC: 8652FF52 00FFFFFF
	s_cmp_lt_u32 s82, s66                                      // 000000006FF4: BF0A4252
	s_cselect_b32 s20, s36, s60                                // 000000006FF8: 85143C24
	v_readlane_b32 s82, v3, 7                                  // 000000006FFC: D2890052 00010F03
	s_and_b32 s82, s82, 0xffffff                               // 000000007004: 8652FF52 00FFFFFF
	s_cmp_lt_u32 s82, s66                                      // 00000000700C: BF0A4252
	s_cselect_b32 s21, s36, s60                                // 000000007010: 85153C24
	s_mov_b64 exec, s[20:21]                                   // 000000007014: BEFE0114
	global_atomic_add_f32 v6, v69, s[8:9]                      // 000000007018: DD348000 00084506
	global_atomic_add_f32 v6, v73, s[8:9] offset:256           // 000000007020: DD348100 00084906
	s_mov_b64 exec, s[36:37]                                   // 000000007028: BEFE0124
	ds_write_b64 v20, v[62:63]                                 // 00000000702C: D89A0000 00003E14
	ds_write_b64 v20, v[66:67] offset:4352                     // 000000007034: D89A1100 00004214
	ds_write_b64 v20, v[70:71] offset:2176                     // 00000000703C: D89A0880 00004614
	ds_write_b64 v20, v[74:75] offset:6528                     // 000000007044: D89A1980 00004A14
	s_waitcnt lgkmcnt(0)                                       // 00000000704C: BF8CC07F
	s_barrier                                                  // 000000007050: BF8A0000
	ds_read_b32 v62, v21                                       // 000000007054: D86C0000 3E000015
	ds_read_b32 v63, v21 offset:64                             // 00000000705C: D86C0040 3F000015
	ds_read_b32 v66, v21 offset:2176                           // 000000007064: D86C0880 42000015
	ds_read_b32 v67, v21 offset:2240                           // 00000000706C: D86C08C0 43000015
	ds_read_b32 v70, v21 offset:4352                           // 000000007074: D86C1100 46000015
	ds_read_b32 v71, v21 offset:4416                           // 00000000707C: D86C1140 47000015
	ds_read_b32 v74, v21 offset:6528                           // 000000007084: D86C1980 4A000015
	ds_read_b32 v75, v21 offset:6592                           // 00000000708C: D86C19C0 4B000015
	s_waitcnt lgkmcnt(0)                                       // 000000007094: BF8CC07F
	v_mov_b32_e32 v7, 0                                        // 000000007098: 7E0E0280
	s_mov_b64 exec, s[36:37]                                   // 00000000709C: BEFE0124
	v_mov_b32_e32 v6, v38                                      // 0000000070A0: 7E0C0326
	s_mov_b64 s[60:61], 0                                      // 0000000070A4: BEBC0180
	v_readlane_b32 s82, v3, 0                                  // 0000000070A8: D2890052 00010103
	s_and_b32 s82, s82, 0xffffff                               // 0000000070B0: 8652FF52 00FFFFFF
	s_cmp_lt_u32 s82, s66                                      // 0000000070B8: BF0A4252
	s_cselect_b32 s20, s36, s60                                // 0000000070BC: 85143C24
	v_readlane_b32 s82, v3, 1                                  // 0000000070C0: D2890052 00010303
	s_and_b32 s82, s82, 0xffffff                               // 0000000070C8: 8652FF52 00FFFFFF
	s_cmp_lt_u32 s82, s66                                      // 0000000070D0: BF0A4252
	s_cselect_b32 s21, s36, s60                                // 0000000070D4: 85153C24
	s_mov_b64 exec, s[20:21]                                   // 0000000070D8: BEFE0114
	global_atomic_add_f32 v6, v62, s[8:9] offset:8             // 0000000070DC: DD348008 00083E06
	global_atomic_add_f32 v6, v66, s[8:9] offset:264           // 0000000070E4: DD348108 00084206
	s_mov_b64 exec, s[36:37]                                   // 0000000070EC: BEFE0124
	v_mov_b32_e32 v6, v39                                      // 0000000070F0: 7E0C0327
	s_mov_b64 s[60:61], 0                                      // 0000000070F4: BEBC0180
	v_readlane_b32 s82, v3, 2                                  // 0000000070F8: D2890052 00010503
	s_and_b32 s82, s82, 0xffffff                               // 000000007100: 8652FF52 00FFFFFF
	s_cmp_lt_u32 s82, s66                                      // 000000007108: BF0A4252
	s_cselect_b32 s20, s36, s60                                // 00000000710C: 85143C24
	v_readlane_b32 s82, v3, 3                                  // 000000007110: D2890052 00010703
	s_and_b32 s82, s82, 0xffffff                               // 000000007118: 8652FF52 00FFFFFF
	s_cmp_lt_u32 s82, s66                                      // 000000007120: BF0A4252
	s_cselect_b32 s21, s36, s60                                // 000000007124: 85153C24
	s_mov_b64 exec, s[20:21]                                   // 000000007128: BEFE0114
	global_atomic_add_f32 v6, v63, s[8:9] offset:8             // 00000000712C: DD348008 00083F06
	global_atomic_add_f32 v6, v67, s[8:9] offset:264           // 000000007134: DD348108 00084306
	s_mov_b64 exec, s[36:37]                                   // 00000000713C: BEFE0124
	v_mov_b32_e32 v6, v40                                      // 000000007140: 7E0C0328
	s_mov_b64 s[60:61], 0                                      // 000000007144: BEBC0180
	v_readlane_b32 s82, v3, 4                                  // 000000007148: D2890052 00010903
	s_and_b32 s82, s82, 0xffffff                               // 000000007150: 8652FF52 00FFFFFF
	s_cmp_lt_u32 s82, s66                                      // 000000007158: BF0A4252
	s_cselect_b32 s20, s36, s60                                // 00000000715C: 85143C24
	v_readlane_b32 s82, v3, 5                                  // 000000007160: D2890052 00010B03
	s_and_b32 s82, s82, 0xffffff                               // 000000007168: 8652FF52 00FFFFFF
	s_cmp_lt_u32 s82, s66                                      // 000000007170: BF0A4252
	s_cselect_b32 s21, s36, s60                                // 000000007174: 85153C24
	s_mov_b64 exec, s[20:21]                                   // 000000007178: BEFE0114
	global_atomic_add_f32 v6, v70, s[8:9] offset:8             // 00000000717C: DD348008 00084606
	global_atomic_add_f32 v6, v74, s[8:9] offset:264           // 000000007184: DD348108 00084A06
	s_mov_b64 exec, s[36:37]                                   // 00000000718C: BEFE0124
	v_mov_b32_e32 v6, v41                                      // 000000007190: 7E0C0329
	s_mov_b64 s[60:61], 0                                      // 000000007194: BEBC0180
	v_readlane_b32 s82, v3, 6                                  // 000000007198: D2890052 00010D03
	s_and_b32 s82, s82, 0xffffff                               // 0000000071A0: 8652FF52 00FFFFFF
	s_cmp_lt_u32 s82, s66                                      // 0000000071A8: BF0A4252
	s_cselect_b32 s20, s36, s60                                // 0000000071AC: 85143C24
	v_readlane_b32 s82, v3, 7                                  // 0000000071B0: D2890052 00010F03
	s_and_b32 s82, s82, 0xffffff                               // 0000000071B8: 8652FF52 00FFFFFF
	s_cmp_lt_u32 s82, s66                                      // 0000000071C0: BF0A4252
	s_cselect_b32 s21, s36, s60                                // 0000000071C4: 85153C24
	s_mov_b64 exec, s[20:21]                                   // 0000000071C8: BEFE0114
	global_atomic_add_f32 v6, v71, s[8:9] offset:8             // 0000000071CC: DD348008 00084706
	global_atomic_add_f32 v6, v75, s[8:9] offset:264           // 0000000071D4: DD348108 00084B06
	s_mov_b64 exec, s[36:37]                                   // 0000000071DC: BEFE0124
	s_branch label_11FC                                        // 0000000071E0: BF820000

00000000000071e4 <label_11FC>:
	s_waitcnt vmcnt(0) expcnt(0) lgkmcnt(0)                    // 0000000071E4: BF8C0000
	s_endpgm                                                   // 0000000071E8: BF810000
